;; amdgpu-corpus repo=ROCm/rocSOLVER kind=compiled arch=gfx906 opt=O3
	.amdgcn_target "amdgcn-amd-amdhsa--gfx906"
	.amdhsa_code_object_version 6
	.section	.text._ZN9rocsolver6v33100L10reset_infoIiiiEEvPT_T0_T1_S4_,"axG",@progbits,_ZN9rocsolver6v33100L10reset_infoIiiiEEvPT_T0_T1_S4_,comdat
	.globl	_ZN9rocsolver6v33100L10reset_infoIiiiEEvPT_T0_T1_S4_ ; -- Begin function _ZN9rocsolver6v33100L10reset_infoIiiiEEvPT_T0_T1_S4_
	.p2align	8
	.type	_ZN9rocsolver6v33100L10reset_infoIiiiEEvPT_T0_T1_S4_,@function
_ZN9rocsolver6v33100L10reset_infoIiiiEEvPT_T0_T1_S4_: ; @_ZN9rocsolver6v33100L10reset_infoIiiiEEvPT_T0_T1_S4_
; %bb.0:
	s_load_dword s7, s[4:5], 0x24
	s_load_dwordx4 s[0:3], s[4:5], 0x8
	s_waitcnt lgkmcnt(0)
	s_and_b32 s3, s7, 0xffff
	s_mul_i32 s6, s6, s3
	v_add_u32_e32 v0, s6, v0
	v_cmp_gt_i32_e32 vcc, s0, v0
	s_and_saveexec_b64 s[6:7], vcc
	s_cbranch_execz .LBB0_2
; %bb.1:
	s_load_dwordx2 s[4:5], s[4:5], 0x0
	v_ashrrev_i32_e32 v1, 31, v0
	v_mul_lo_u32 v2, v0, s2
	v_lshlrev_b64 v[0:1], 2, v[0:1]
	s_waitcnt lgkmcnt(0)
	v_mov_b32_e32 v3, s5
	v_add_co_u32_e32 v0, vcc, s4, v0
	v_addc_co_u32_e32 v1, vcc, v3, v1, vcc
	v_add_u32_e32 v2, s1, v2
	global_store_dword v[0:1], v2, off
.LBB0_2:
	s_endpgm
	.section	.rodata,"a",@progbits
	.p2align	6, 0x0
	.amdhsa_kernel _ZN9rocsolver6v33100L10reset_infoIiiiEEvPT_T0_T1_S4_
		.amdhsa_group_segment_fixed_size 0
		.amdhsa_private_segment_fixed_size 0
		.amdhsa_kernarg_size 280
		.amdhsa_user_sgpr_count 6
		.amdhsa_user_sgpr_private_segment_buffer 1
		.amdhsa_user_sgpr_dispatch_ptr 0
		.amdhsa_user_sgpr_queue_ptr 0
		.amdhsa_user_sgpr_kernarg_segment_ptr 1
		.amdhsa_user_sgpr_dispatch_id 0
		.amdhsa_user_sgpr_flat_scratch_init 0
		.amdhsa_user_sgpr_private_segment_size 0
		.amdhsa_uses_dynamic_stack 0
		.amdhsa_system_sgpr_private_segment_wavefront_offset 0
		.amdhsa_system_sgpr_workgroup_id_x 1
		.amdhsa_system_sgpr_workgroup_id_y 0
		.amdhsa_system_sgpr_workgroup_id_z 0
		.amdhsa_system_sgpr_workgroup_info 0
		.amdhsa_system_vgpr_workitem_id 0
		.amdhsa_next_free_vgpr 4
		.amdhsa_next_free_sgpr 8
		.amdhsa_reserve_vcc 1
		.amdhsa_reserve_flat_scratch 0
		.amdhsa_float_round_mode_32 0
		.amdhsa_float_round_mode_16_64 0
		.amdhsa_float_denorm_mode_32 3
		.amdhsa_float_denorm_mode_16_64 3
		.amdhsa_dx10_clamp 1
		.amdhsa_ieee_mode 1
		.amdhsa_fp16_overflow 0
		.amdhsa_exception_fp_ieee_invalid_op 0
		.amdhsa_exception_fp_denorm_src 0
		.amdhsa_exception_fp_ieee_div_zero 0
		.amdhsa_exception_fp_ieee_overflow 0
		.amdhsa_exception_fp_ieee_underflow 0
		.amdhsa_exception_fp_ieee_inexact 0
		.amdhsa_exception_int_div_zero 0
	.end_amdhsa_kernel
	.section	.text._ZN9rocsolver6v33100L10reset_infoIiiiEEvPT_T0_T1_S4_,"axG",@progbits,_ZN9rocsolver6v33100L10reset_infoIiiiEEvPT_T0_T1_S4_,comdat
.Lfunc_end0:
	.size	_ZN9rocsolver6v33100L10reset_infoIiiiEEvPT_T0_T1_S4_, .Lfunc_end0-_ZN9rocsolver6v33100L10reset_infoIiiiEEvPT_T0_T1_S4_
                                        ; -- End function
	.set _ZN9rocsolver6v33100L10reset_infoIiiiEEvPT_T0_T1_S4_.num_vgpr, 4
	.set _ZN9rocsolver6v33100L10reset_infoIiiiEEvPT_T0_T1_S4_.num_agpr, 0
	.set _ZN9rocsolver6v33100L10reset_infoIiiiEEvPT_T0_T1_S4_.numbered_sgpr, 8
	.set _ZN9rocsolver6v33100L10reset_infoIiiiEEvPT_T0_T1_S4_.num_named_barrier, 0
	.set _ZN9rocsolver6v33100L10reset_infoIiiiEEvPT_T0_T1_S4_.private_seg_size, 0
	.set _ZN9rocsolver6v33100L10reset_infoIiiiEEvPT_T0_T1_S4_.uses_vcc, 1
	.set _ZN9rocsolver6v33100L10reset_infoIiiiEEvPT_T0_T1_S4_.uses_flat_scratch, 0
	.set _ZN9rocsolver6v33100L10reset_infoIiiiEEvPT_T0_T1_S4_.has_dyn_sized_stack, 0
	.set _ZN9rocsolver6v33100L10reset_infoIiiiEEvPT_T0_T1_S4_.has_recursion, 0
	.set _ZN9rocsolver6v33100L10reset_infoIiiiEEvPT_T0_T1_S4_.has_indirect_call, 0
	.section	.AMDGPU.csdata,"",@progbits
; Kernel info:
; codeLenInByte = 108
; TotalNumSgprs: 12
; NumVgprs: 4
; ScratchSize: 0
; MemoryBound: 0
; FloatMode: 240
; IeeeMode: 1
; LDSByteSize: 0 bytes/workgroup (compile time only)
; SGPRBlocks: 1
; VGPRBlocks: 0
; NumSGPRsForWavesPerEU: 12
; NumVGPRsForWavesPerEU: 4
; Occupancy: 10
; WaveLimiterHint : 0
; COMPUTE_PGM_RSRC2:SCRATCH_EN: 0
; COMPUTE_PGM_RSRC2:USER_SGPR: 6
; COMPUTE_PGM_RSRC2:TRAP_HANDLER: 0
; COMPUTE_PGM_RSRC2:TGID_X_EN: 1
; COMPUTE_PGM_RSRC2:TGID_Y_EN: 0
; COMPUTE_PGM_RSRC2:TGID_Z_EN: 0
; COMPUTE_PGM_RSRC2:TIDIG_COMP_CNT: 0
	.section	.text._ZN9rocsolver6v33100L12sterf_kernelIfEEviPT_lS3_lPiS4_iS2_S2_S2_,"axG",@progbits,_ZN9rocsolver6v33100L12sterf_kernelIfEEviPT_lS3_lPiS4_iS2_S2_S2_,comdat
	.globl	_ZN9rocsolver6v33100L12sterf_kernelIfEEviPT_lS3_lPiS4_iS2_S2_S2_ ; -- Begin function _ZN9rocsolver6v33100L12sterf_kernelIfEEviPT_lS3_lPiS4_iS2_S2_S2_
	.p2align	8
	.type	_ZN9rocsolver6v33100L12sterf_kernelIfEEviPT_lS3_lPiS4_iS2_S2_S2_,@function
_ZN9rocsolver6v33100L12sterf_kernelIfEEviPT_lS3_lPiS4_iS2_S2_S2_: ; @_ZN9rocsolver6v33100L12sterf_kernelIfEEviPT_lS3_lPiS4_iS2_S2_S2_
; %bb.0:
	s_load_dwordx8 s[12:19], s[4:5], 0x8
	s_load_dword s33, s[4:5], 0x0
	s_load_dwordx4 s[20:23], s[4:5], 0x38
	s_ashr_i32 s7, s6, 31
	s_waitcnt lgkmcnt(0)
	s_mul_hi_u32 s0, s14, s6
	s_mul_i32 s1, s14, s7
	s_add_i32 s0, s0, s1
	s_mul_i32 s1, s15, s6
	s_add_i32 s1, s0, s1
	s_mul_i32 s0, s14, s6
	s_lshl_b64 s[10:11], s[0:1], 2
	s_add_u32 s54, s12, s10
	s_mul_hi_u32 s0, s18, s6
	s_mul_i32 s1, s18, s7
	s_addc_u32 s55, s13, s11
	s_add_i32 s0, s0, s1
	s_mul_i32 s1, s19, s6
	s_add_i32 s1, s0, s1
	s_mul_i32 s0, s18, s6
	s_lshl_b64 s[0:1], s[0:1], 2
	s_add_u32 s14, s16, s0
	s_addc_u32 s15, s17, s1
	s_min_i32 s2, s33, s20
	s_cmp_lt_i32 s2, 1
	s_cbranch_scc1 .LBB1_148
; %bb.1:
	s_add_i32 s56, s33, -1
	s_add_u32 s57, s16, s0
	s_addc_u32 s58, s17, s1
	s_add_u32 s59, s57, -4
	s_addc_u32 s60, s58, -1
	s_add_u32 s61, s12, s10
	s_addc_u32 s62, s13, s11
	s_add_u32 s63, s61, 4
	s_addc_u32 s64, s62, 0
	s_add_u32 s65, s57, 4
	s_mov_b32 s16, 0x667f3bcd
	v_mul_f32_e64 v0, s21, s21
	s_addc_u32 s66, s58, 0
	s_mov_b32 s67, 0
	v_mov_b32_e32 v1, 0
	s_mov_b32 s68, 0xf800000
	s_mov_b32 s69, 0x4f800000
	v_mov_b32_e32 v2, 0x260
	s_mov_b32 s17, 0x3ff6a09e
	s_mov_b32 s19, 0
	;; [unrolled: 1-line block ×3, first 2 shown]
	s_branch .LBB1_3
.LBB1_2:                                ;   in Loop: Header=BB1_3 Depth=1
	s_andn2_b64 vcc, exec, s[8:9]
	s_cbranch_vccz .LBB1_20
.LBB1_3:                                ; =>This Loop Header: Depth=1
                                        ;     Child Loop BB1_7 Depth 2
                                        ;     Child Loop BB1_14 Depth 2
	;; [unrolled: 1-line block ×6, first 2 shown]
                                        ;       Child Loop BB1_56 Depth 3
                                        ;       Child Loop BB1_68 Depth 3
                                        ;     Child Loop BB1_102 Depth 2
                                        ;       Child Loop BB1_104 Depth 3
                                        ;       Child Loop BB1_117 Depth 3
                                        ;     Child Loop BB1_46 Depth 2
                                        ;     Child Loop BB1_50 Depth 2
	s_mov_b32 s18, s19
	s_cmp_lt_i32 s19, 1
	s_cbranch_scc1 .LBB1_5
; %bb.4:                                ;   in Loop: Header=BB1_3 Depth=1
	s_mov_b32 s19, s67
	s_lshl_b64 s[0:1], s[18:19], 2
	s_add_u32 s0, s14, s0
	s_addc_u32 s1, s15, s1
	global_store_dword v1, v1, s[0:1] offset:-4
.LBB1_5:                                ;   in Loop: Header=BB1_3 Depth=1
	s_ashr_i32 s19, s18, 31
	s_lshl_b64 s[26:27], s[18:19], 2
	s_add_u32 s0, s59, s26
	s_addc_u32 s1, s60, s27
	s_add_u32 s8, s63, s26
	s_addc_u32 s9, s64, s27
	s_mov_b32 s24, s18
	s_mov_b64 s[28:29], -1
	s_cmp_ge_i32 s24, s56
	s_mov_b64 s[2:3], -1
                                        ; implicit-def: $sgpr19
	s_cbranch_scc1 .LBB1_7
.LBB1_6:                                ;   in Loop: Header=BB1_3 Depth=1
	global_load_dwordx2 v[3:4], v1, s[8:9] offset:-4
	global_load_dword v5, v1, s[0:1] offset:4
	s_add_u32 s30, s0, 4
	s_addc_u32 s31, s1, 0
	s_add_i32 s19, s24, 1
	s_add_u32 s8, s8, 4
	s_mov_b64 s[28:29], 0
	s_addc_u32 s9, s9, 0
	s_waitcnt vmcnt(1)
	v_mul_f32_e64 v6, |v3|, s69
	v_cmp_lt_f32_e64 vcc, |v3|, s68
	v_mul_f32_e64 v7, |v4|, s69
	v_cndmask_b32_e64 v3, |v3|, v6, vcc
	v_cmp_lt_f32_e64 s[0:1], |v4|, s68
	v_sqrt_f32_e32 v6, v3
	v_cndmask_b32_e64 v4, |v4|, v7, s[0:1]
	v_sqrt_f32_e32 v7, v4
	v_add_u32_e32 v8, -1, v6
	v_fma_f32 v12, -v8, v6, v3
	v_add_u32_e32 v10, -1, v7
	v_add_u32_e32 v9, 1, v6
	v_fma_f32 v14, -v10, v7, v4
	v_cmp_ge_f32_e64 s[2:3], 0, v12
	v_add_u32_e32 v11, 1, v7
	v_fma_f32 v13, -v9, v6, v3
	v_cndmask_b32_e64 v6, v6, v8, s[2:3]
	v_cmp_ge_f32_e64 s[2:3], 0, v14
	v_fma_f32 v15, -v11, v7, v4
	v_cndmask_b32_e64 v7, v7, v10, s[2:3]
	v_cmp_lt_f32_e64 s[2:3], 0, v13
	v_cndmask_b32_e64 v6, v6, v9, s[2:3]
	v_cmp_lt_f32_e64 s[2:3], 0, v15
	v_cndmask_b32_e64 v7, v7, v11, s[2:3]
	v_mul_f32_e32 v8, 0x37800000, v6
	v_mul_f32_e32 v9, 0x37800000, v7
	v_cndmask_b32_e32 v6, v6, v8, vcc
	v_cmp_class_f32_e32 vcc, v3, v2
	v_cndmask_b32_e64 v7, v7, v9, s[0:1]
	v_cndmask_b32_e32 v3, v6, v3, vcc
	v_cmp_class_f32_e32 vcc, v4, v2
	v_cndmask_b32_e32 v4, v7, v4, vcc
	v_mul_f32_e32 v3, v3, v4
	v_mul_f32_e32 v3, s21, v3
	s_waitcnt vmcnt(0)
	v_cmp_le_f32_e64 s[2:3], |v5|, v3
	s_mov_b64 s[0:1], s[30:31]
.LBB1_7:                                ;   Parent Loop BB1_3 Depth=1
                                        ; =>  This Inner Loop Header: Depth=2
	s_andn2_b64 vcc, exec, s[2:3]
	s_cbranch_vccz .LBB1_9
; %bb.8:                                ;   in Loop: Header=BB1_7 Depth=2
	s_mov_b32 s24, s19
	s_mov_b64 s[28:29], -1
	s_cmp_ge_i32 s24, s56
	s_mov_b64 s[2:3], -1
                                        ; implicit-def: $sgpr19
	s_cbranch_scc0 .LBB1_6
	s_branch .LBB1_7
.LBB1_9:                                ;   in Loop: Header=BB1_3 Depth=1
	s_andn2_b64 vcc, exec, s[28:29]
	s_mov_b64 s[2:3], -1
	s_cbranch_vccnz .LBB1_16
; %bb.10:                               ;   in Loop: Header=BB1_3 Depth=1
	s_andn2_b64 vcc, exec, s[2:3]
	s_cbranch_vccz .LBB1_17
.LBB1_11:                               ;   in Loop: Header=BB1_3 Depth=1
	s_cmp_lg_u32 s24, s18
	s_mov_b64 s[2:3], -1
	s_cbranch_scc0 .LBB1_18
.LBB1_12:                               ;   in Loop: Header=BB1_3 Depth=1
	s_ashr_i32 s25, s24, 31
	s_lshl_b64 s[0:1], s[24:25], 2
	s_add_u32 s28, s54, s0
	s_addc_u32 s29, s55, s1
	global_load_dword v4, v1, s[28:29]
	s_cmp_lt_i32 s18, s24
	s_cselect_b64 s[0:1], -1, 0
	s_cmp_ge_i32 s18, s24
	s_waitcnt vmcnt(0)
	v_and_b32_e32 v3, 0x7fffffff, v4
	s_cbranch_scc1 .LBB1_15
; %bb.13:                               ;   in Loop: Header=BB1_3 Depth=1
	s_add_u32 s8, s61, s26
	s_addc_u32 s9, s62, s27
	s_add_u32 s30, s57, s26
	s_addc_u32 s31, s58, s27
	s_mov_b32 s25, s18
.LBB1_14:                               ;   Parent Loop BB1_3 Depth=1
                                        ; =>  This Inner Loop Header: Depth=2
	global_load_dword v5, v1, s[8:9]
	global_load_dword v6, v1, s[30:31]
	s_add_i32 s25, s25, 1
	s_add_u32 s8, s8, 4
	s_addc_u32 s9, s9, 0
	s_add_u32 s30, s30, 4
	s_addc_u32 s31, s31, 0
	s_cmp_lt_i32 s25, s24
	s_waitcnt vmcnt(0)
	v_max3_f32 v3, v3, |v5|, |v6|
	s_cbranch_scc1 .LBB1_14
.LBB1_15:                               ;   in Loop: Header=BB1_3 Depth=1
	v_cmp_eq_f32_e64 s[8:9], 0, v3
	s_and_b64 vcc, exec, s[8:9]
	s_mov_b64 s[8:9], -1
	s_cbranch_vccz .LBB1_2
	s_branch .LBB1_19
.LBB1_16:                               ;   in Loop: Header=BB1_3 Depth=1
	global_store_dword v1, v1, s[0:1]
	s_cbranch_execnz .LBB1_11
.LBB1_17:                               ;   in Loop: Header=BB1_3 Depth=1
	s_max_i32 s24, s18, s56
	s_add_i32 s19, s24, 1
	s_cmp_lg_u32 s24, s18
	s_mov_b64 s[2:3], -1
	s_cbranch_scc1 .LBB1_12
.LBB1_18:                               ;   in Loop: Header=BB1_3 Depth=1
                                        ; implicit-def: $sgpr28_sgpr29
                                        ; implicit-def: $vgpr4
                                        ; implicit-def: $sgpr0_sgpr1
                                        ; implicit-def: $vgpr3
	s_mov_b64 s[8:9], -1
	s_cbranch_execz .LBB1_2
.LBB1_19:                               ;   in Loop: Header=BB1_3 Depth=1
	s_cmp_ge_i32 s19, s33
	s_mov_b64 s[2:3], 0
	s_cselect_b64 s[8:9], -1, 0
	s_branch .LBB1_2
.LBB1_20:                               ;   in Loop: Header=BB1_3 Depth=1
	s_mov_b64 s[8:9], -1
	s_and_b64 vcc, exec, s[2:3]
                                        ; implicit-def: $sgpr31
	s_cbranch_vccz .LBB1_52
; %bb.21:                               ;   in Loop: Header=BB1_3 Depth=1
	v_cmp_nlt_f32_e32 vcc, s23, v3
	s_cbranch_vccz .LBB1_27
; %bb.22:                               ;   in Loop: Header=BB1_3 Depth=1
	v_cmp_gt_f32_e32 vcc, s22, v3
	s_mov_b64 s[2:3], -1
	s_cbranch_vccz .LBB1_28
; %bb.23:                               ;   in Loop: Header=BB1_3 Depth=1
	v_div_scale_f32 v5, s[2:3], s22, s22, v3
	v_div_scale_f32 v6, vcc, v3, s22, v3
	s_mov_b64 s[2:3], 0
	v_rcp_f32_e32 v7, v5
	v_fma_f32 v8, -v5, v7, 1.0
	v_fmac_f32_e32 v7, v8, v7
	v_mul_f32_e32 v8, v6, v7
	v_fma_f32 v9, -v5, v8, v6
	v_fmac_f32_e32 v8, v9, v7
	v_fma_f32 v5, -v5, v8, v6
	v_div_fmas_f32 v5, v5, v7, v8
	s_and_b64 vcc, exec, s[0:1]
	v_div_fixup_f32 v5, v5, s22, v3
	s_waitcnt vmcnt(0)
	v_mul_f32_e32 v6, v4, v5
	global_store_dword v1, v6, s[28:29]
	s_cbranch_vccz .LBB1_28
; %bb.24:                               ;   in Loop: Header=BB1_3 Depth=1
	s_add_u32 s2, s61, s26
	s_addc_u32 s3, s62, s27
	s_add_u32 s8, s57, s26
	s_addc_u32 s9, s58, s27
	s_mov_b32 s25, s18
.LBB1_25:                               ;   Parent Loop BB1_3 Depth=1
                                        ; =>  This Inner Loop Header: Depth=2
	global_load_dword v6, v1, s[2:3]
	s_add_i32 s25, s25, 1
	s_waitcnt vmcnt(0)
	v_mul_f32_e32 v6, v5, v6
	global_store_dword v1, v6, s[2:3]
	global_load_dword v6, v1, s[8:9]
	s_add_u32 s2, s2, 4
	s_addc_u32 s3, s3, 0
	s_waitcnt vmcnt(0)
	v_mul_f32_e32 v6, v5, v6
	global_store_dword v1, v6, s[8:9]
	s_add_u32 s8, s8, 4
	s_addc_u32 s9, s9, 0
	s_cmp_lt_i32 s25, s24
	s_cbranch_scc1 .LBB1_25
; %bb.26:                               ;   in Loop: Header=BB1_3 Depth=1
	s_mov_b64 s[2:3], -1
	s_branch .LBB1_33
.LBB1_27:                               ;   in Loop: Header=BB1_3 Depth=1
	s_mov_b64 s[2:3], 0
	s_and_b64 vcc, exec, s[8:9]
	s_cbranch_vccnz .LBB1_29
	s_branch .LBB1_33
.LBB1_28:                               ;   in Loop: Header=BB1_3 Depth=1
	s_branch .LBB1_33
.LBB1_29:                               ;   in Loop: Header=BB1_3 Depth=1
	v_div_scale_f32 v5, s[8:9], s23, s23, v3
	v_div_scale_f32 v6, vcc, v3, s23, v3
	v_rcp_f32_e32 v7, v5
	v_fma_f32 v8, -v5, v7, 1.0
	v_fmac_f32_e32 v7, v8, v7
	v_mul_f32_e32 v8, v6, v7
	v_fma_f32 v9, -v5, v8, v6
	v_fmac_f32_e32 v8, v9, v7
	v_fma_f32 v5, -v5, v8, v6
	v_div_fmas_f32 v5, v5, v7, v8
	s_and_b64 vcc, exec, s[0:1]
	v_div_fixup_f32 v5, v5, s23, v3
	s_waitcnt vmcnt(0)
	v_mul_f32_e32 v4, v4, v5
	global_store_dword v1, v4, s[28:29]
	s_cbranch_vccz .LBB1_33
; %bb.30:                               ;   in Loop: Header=BB1_3 Depth=1
	s_add_u32 s2, s61, s26
	s_addc_u32 s3, s62, s27
	s_add_u32 s8, s57, s26
	s_addc_u32 s9, s58, s27
	s_mov_b32 s25, s18
.LBB1_31:                               ;   Parent Loop BB1_3 Depth=1
                                        ; =>  This Inner Loop Header: Depth=2
	global_load_dword v4, v1, s[2:3]
	s_add_i32 s25, s25, 1
	s_waitcnt vmcnt(0)
	v_mul_f32_e32 v4, v5, v4
	global_store_dword v1, v4, s[2:3]
	global_load_dword v4, v1, s[8:9]
	s_add_u32 s2, s2, 4
	s_addc_u32 s3, s3, 0
	s_waitcnt vmcnt(0)
	v_mul_f32_e32 v4, v5, v4
	global_store_dword v1, v4, s[8:9]
	s_add_u32 s8, s8, 4
	s_addc_u32 s9, s9, 0
	s_cmp_ge_i32 s25, s24
	s_cbranch_scc0 .LBB1_31
; %bb.32:                               ;   in Loop: Header=BB1_3 Depth=1
	s_mov_b64 s[2:3], -1
.LBB1_33:                               ;   in Loop: Header=BB1_3 Depth=1
	s_waitcnt vmcnt(0)
	v_cndmask_b32_e64 v4, 0, 1, s[0:1]
	s_and_b64 vcc, exec, s[2:3]
	v_cmp_ne_u32_e64 s[0:1], 1, v4
	s_cbranch_vccz .LBB1_37
; %bb.34:                               ;   in Loop: Header=BB1_3 Depth=1
	s_and_b64 vcc, exec, s[0:1]
	s_cbranch_vccnz .LBB1_37
; %bb.35:                               ;   in Loop: Header=BB1_3 Depth=1
	s_add_u32 s2, s57, s26
	s_addc_u32 s3, s58, s27
	s_mov_b32 s8, s18
.LBB1_36:                               ;   Parent Loop BB1_3 Depth=1
                                        ; =>  This Inner Loop Header: Depth=2
	global_load_dword v4, v1, s[2:3]
	s_add_i32 s8, s8, 1
	s_waitcnt vmcnt(0)
	v_mul_f32_e32 v4, v4, v4
	global_store_dword v1, v4, s[2:3]
	s_add_u32 s2, s2, 4
	s_addc_u32 s3, s3, 0
	s_cmp_lt_i32 s8, s24
	s_cbranch_scc1 .LBB1_36
.LBB1_37:                               ;   in Loop: Header=BB1_3 Depth=1
	s_add_u32 s2, s54, s26
	s_addc_u32 s3, s55, s27
	global_load_dword v4, v1, s[28:29]
	global_load_dword v5, v1, s[2:3]
	s_mov_b64 s[8:9], -1
                                        ; implicit-def: $sgpr31
	s_waitcnt vmcnt(0)
	v_cmp_lt_f32_e64 s[2:3], |v4|, |v5|
	s_and_b64 s[2:3], s[2:3], exec
	s_cselect_b32 s25, s18, s24
	s_cselect_b32 s30, s24, s18
	s_cmp_lt_i32 s70, s20
	s_cselect_b64 s[2:3], -1, 0
	v_cndmask_b32_e64 v4, 0, 1, s[2:3]
	s_cmp_lt_i32 s25, s30
	v_cmp_ne_u32_e64 s[2:3], 1, v4
	s_cbranch_scc0 .LBB1_40
; %bb.38:                               ;   in Loop: Header=BB1_3 Depth=1
	s_andn2_b64 vcc, exec, s[8:9]
	s_cbranch_vccz .LBB1_42
.LBB1_39:                               ;   in Loop: Header=BB1_3 Depth=1
	v_cmp_lt_f32_e32 vcc, s23, v3
	s_andn2_b64 vcc, exec, vcc
	s_cbranch_vccz .LBB1_44
	s_branch .LBB1_47
.LBB1_40:                               ;   in Loop: Header=BB1_3 Depth=1
	s_and_b64 vcc, exec, s[2:3]
	s_mov_b32 s31, s70
	s_mov_b32 s34, s30
	s_cbranch_vccz .LBB1_54
.LBB1_41:                               ;   in Loop: Header=BB1_3 Depth=1
	s_cbranch_execnz .LBB1_39
.LBB1_42:                               ;   in Loop: Header=BB1_3 Depth=1
	s_and_b64 vcc, exec, s[2:3]
	s_cbranch_vccz .LBB1_102
.LBB1_43:                               ;   in Loop: Header=BB1_3 Depth=1
	s_mov_b32 s31, s70
	v_cmp_lt_f32_e32 vcc, s23, v3
	s_andn2_b64 vcc, exec, vcc
	s_cbranch_vccnz .LBB1_47
.LBB1_44:                               ;   in Loop: Header=BB1_3 Depth=1
	global_load_dword v5, v1, s[28:29]
	s_waitcnt vmcnt(1)
	v_div_scale_f32 v4, s[2:3], v3, v3, s23
	v_div_scale_f32 v6, vcc, s23, v3, s23
	v_rcp_f32_e32 v7, v4
	v_fma_f32 v8, -v4, v7, 1.0
	v_fmac_f32_e32 v7, v8, v7
	v_mul_f32_e32 v8, v6, v7
	v_fma_f32 v9, -v4, v8, v6
	v_fmac_f32_e32 v8, v9, v7
	v_fma_f32 v4, -v4, v8, v6
	v_div_fmas_f32 v4, v4, v7, v8
	s_and_b64 vcc, exec, s[0:1]
	v_div_fixup_f32 v4, v4, v3, s23
	s_waitcnt vmcnt(0)
	v_mul_f32_e32 v5, v4, v5
	global_store_dword v1, v5, s[28:29]
	s_cbranch_vccnz .LBB1_47
; %bb.45:                               ;   in Loop: Header=BB1_3 Depth=1
	s_add_u32 s2, s61, s26
	s_addc_u32 s3, s62, s27
	s_add_u32 s8, s57, s26
	s_addc_u32 s9, s58, s27
	s_mov_b32 s25, s18
.LBB1_46:                               ;   Parent Loop BB1_3 Depth=1
                                        ; =>  This Inner Loop Header: Depth=2
	global_load_dword v5, v1, s[2:3]
	s_add_i32 s25, s25, 1
	s_waitcnt vmcnt(0)
	v_mul_f32_e32 v5, v4, v5
	global_store_dword v1, v5, s[2:3]
	global_load_dword v5, v1, s[8:9]
	s_add_u32 s2, s2, 4
	s_addc_u32 s3, s3, 0
	s_waitcnt vmcnt(0)
	v_mul_f32_e32 v5, v4, v5
	global_store_dword v1, v5, s[8:9]
	s_add_u32 s8, s8, 4
	s_addc_u32 s9, s9, 0
	s_cmp_lt_i32 s25, s24
	s_cbranch_scc1 .LBB1_46
.LBB1_47:                               ;   in Loop: Header=BB1_3 Depth=1
	v_cmp_ngt_f32_e32 vcc, s22, v3
	s_cbranch_vccnz .LBB1_51
; %bb.48:                               ;   in Loop: Header=BB1_3 Depth=1
	global_load_dword v4, v1, s[28:29]
	v_div_scale_f32 v5, s[2:3], v3, v3, s22
	v_div_scale_f32 v6, vcc, s22, v3, s22
	v_rcp_f32_e32 v7, v5
	v_fma_f32 v8, -v5, v7, 1.0
	v_fmac_f32_e32 v7, v8, v7
	v_mul_f32_e32 v8, v6, v7
	v_fma_f32 v9, -v5, v8, v6
	v_fmac_f32_e32 v8, v9, v7
	v_fma_f32 v5, -v5, v8, v6
	v_div_fmas_f32 v5, v5, v7, v8
	s_and_b64 vcc, exec, s[0:1]
	v_div_fixup_f32 v3, v5, v3, s22
	s_waitcnt vmcnt(0)
	v_mul_f32_e32 v4, v3, v4
	global_store_dword v1, v4, s[28:29]
	s_cbranch_vccnz .LBB1_51
; %bb.49:                               ;   in Loop: Header=BB1_3 Depth=1
	s_add_u32 s0, s61, s26
	s_addc_u32 s1, s62, s27
	s_add_u32 s2, s57, s26
	s_addc_u32 s3, s58, s27
.LBB1_50:                               ;   Parent Loop BB1_3 Depth=1
                                        ; =>  This Inner Loop Header: Depth=2
	global_load_dword v4, v1, s[0:1]
	s_add_i32 s18, s18, 1
	s_waitcnt vmcnt(0)
	v_mul_f32_e32 v4, v3, v4
	global_store_dword v1, v4, s[0:1]
	global_load_dword v4, v1, s[2:3]
	s_add_u32 s0, s0, 4
	s_addc_u32 s1, s1, 0
	s_waitcnt vmcnt(0)
	v_mul_f32_e32 v4, v3, v4
	global_store_dword v1, v4, s[2:3]
	s_add_u32 s2, s2, 4
	s_addc_u32 s3, s3, 0
	s_cmp_lt_i32 s18, s24
	s_cbranch_scc1 .LBB1_50
.LBB1_51:                               ;   in Loop: Header=BB1_3 Depth=1
	s_cmp_ge_i32 s31, s20
	s_cselect_b64 s[0:1], -1, 0
	s_cmp_ge_i32 s19, s33
	s_cselect_b64 s[2:3], -1, 0
	s_or_b64 s[8:9], s[2:3], s[0:1]
.LBB1_52:                               ;   in Loop: Header=BB1_3 Depth=1
	s_and_b64 vcc, exec, s[8:9]
	s_mov_b32 s70, s31
	s_cbranch_vccz .LBB1_3
	s_branch .LBB1_148
.LBB1_53:                               ;   in Loop: Header=BB1_54 Depth=2
	s_andn2_b64 vcc, exec, s[36:37]
	s_cbranch_vccz .LBB1_41
.LBB1_54:                               ;   Parent Loop BB1_3 Depth=1
                                        ; =>  This Loop Header: Depth=2
                                        ;       Child Loop BB1_56 Depth 3
                                        ;       Child Loop BB1_68 Depth 3
	s_ashr_i32 s35, s34, 31
	s_max_i32 s40, s25, s34
	s_lshl_b64 s[42:43], s[34:35], 2
	s_add_u32 s8, s59, s42
	s_addc_u32 s9, s60, s43
	s_add_u32 s36, s63, s42
	s_addc_u32 s37, s64, s43
	s_mov_b32 s35, s34
	s_mov_b64 s[38:39], -1
	s_cmp_ge_i32 s35, s25
	s_mov_b64 s[44:45], -1
                                        ; implicit-def: $sgpr41
	s_cbranch_scc1 .LBB1_56
.LBB1_55:                               ;   in Loop: Header=BB1_54 Depth=2
	global_load_dwordx2 v[4:5], v1, s[36:37] offset:-4
	global_load_dword v6, v1, s[8:9] offset:4
	s_add_u32 s8, s8, 4
	s_addc_u32 s9, s9, 0
	s_add_i32 s41, s35, 1
	s_add_u32 s36, s36, 4
	s_mov_b64 s[38:39], 0
	s_addc_u32 s37, s37, 0
	s_waitcnt vmcnt(1)
	v_mul_f32_e32 v4, v4, v5
	v_mul_f32_e64 v4, v0, |v4|
	s_waitcnt vmcnt(0)
	v_cmp_le_f32_e64 s[44:45], |v6|, v4
.LBB1_56:                               ;   Parent Loop BB1_3 Depth=1
                                        ;     Parent Loop BB1_54 Depth=2
                                        ; =>    This Inner Loop Header: Depth=3
	s_andn2_b64 vcc, exec, s[44:45]
	s_cbranch_vccz .LBB1_58
; %bb.57:                               ;   in Loop: Header=BB1_56 Depth=3
	s_mov_b32 s35, s41
	s_mov_b64 s[38:39], -1
	s_cmp_ge_i32 s35, s25
	s_mov_b64 s[44:45], -1
                                        ; implicit-def: $sgpr41
	s_cbranch_scc0 .LBB1_55
	s_branch .LBB1_56
.LBB1_58:                               ;   in Loop: Header=BB1_54 Depth=2
	s_andn2_b64 vcc, exec, s[38:39]
	s_cbranch_vccz .LBB1_60
; %bb.59:                               ;   in Loop: Header=BB1_54 Depth=2
	s_mov_b32 s40, s35
	global_store_dword v1, v1, s[8:9]
.LBB1_60:                               ;   in Loop: Header=BB1_54 Depth=2
	s_add_i32 s8, s34, 1
	s_cmp_eq_u32 s40, s34
	s_mov_b64 s[36:37], -1
	s_cbranch_scc1 .LBB1_76
; %bb.61:                               ;   in Loop: Header=BB1_54 Depth=2
	s_add_u32 s38, s54, s42
	s_addc_u32 s39, s55, s43
	global_load_dword v4, v1, s[38:39]
	s_cmp_lg_u32 s40, s8
	s_cbranch_scc0 .LBB1_77
; %bb.62:                               ;   in Loop: Header=BB1_54 Depth=2
	s_mov_b64 s[44:45], 0
	s_cmp_lg_u32 s31, s20
	s_mov_b32 s35, s20
	s_mov_b64 s[8:9], 0
	s_cbranch_scc0 .LBB1_78
; %bb.63:                               ;   in Loop: Header=BB1_54 Depth=2
	s_add_u32 s46, s14, s42
	s_addc_u32 s47, s15, s43
	global_load_dword v5, v1, s[46:47]
	s_ashr_i32 s41, s40, 31
	s_lshl_b64 s[50:51], s[40:41], 2
	s_add_u32 s48, s54, s50
	s_addc_u32 s49, s55, s51
	global_load_dword v6, v1, s[48:49]
	global_load_dword v7, v1, s[38:39] offset:4
	s_cmp_le_i32 s40, s34
	s_waitcnt vmcnt(2)
	v_mul_f32_e32 v8, 0x4f800000, v5
	v_cmp_gt_f32_e32 vcc, s68, v5
	v_cndmask_b32_e32 v5, v5, v8, vcc
	v_sqrt_f32_e32 v8, v5
	s_waitcnt vmcnt(0)
	v_sub_f32_e32 v7, v7, v4
	v_add_u32_e32 v9, -1, v8
	v_add_u32_e32 v10, 1, v8
	v_fma_f32 v11, -v9, v8, v5
	v_fma_f32 v12, -v10, v8, v5
	v_cmp_ge_f32_e64 s[8:9], 0, v11
	v_cndmask_b32_e64 v8, v8, v9, s[8:9]
	v_cmp_lt_f32_e64 s[8:9], 0, v12
	v_cndmask_b32_e64 v8, v8, v10, s[8:9]
	v_mul_f32_e32 v9, 0x37800000, v8
	v_cndmask_b32_e32 v8, v8, v9, vcc
	v_cmp_class_f32_e32 vcc, v5, v2
	v_cndmask_b32_e32 v5, v8, v5, vcc
	v_add_f32_e32 v8, v5, v5
	v_div_scale_f32 v9, s[8:9], v8, v8, v7
	v_div_scale_f32 v10, vcc, v7, v8, v7
	v_rcp_f32_e32 v11, v9
	v_fma_f32 v12, -v9, v11, 1.0
	v_fmac_f32_e32 v11, v12, v11
	v_mul_f32_e32 v12, v10, v11
	v_fma_f32 v13, -v9, v12, v10
	v_fmac_f32_e32 v12, v13, v11
	v_fma_f32 v9, -v9, v12, v10
	v_div_fmas_f32 v9, v9, v11, v12
	v_div_fixup_f32 v7, v9, v8, v7
	v_fma_f32 v8, v7, v7, 1.0
	v_mul_f32_e32 v9, 0x4f800000, v8
	v_cmp_gt_f32_e32 vcc, s68, v8
	v_cndmask_b32_e32 v8, v8, v9, vcc
	v_sqrt_f32_e32 v9, v8
	v_add_u32_e32 v10, -1, v9
	v_add_u32_e32 v11, 1, v9
	v_fma_f32 v12, -v10, v9, v8
	v_fma_f32 v13, -v11, v9, v8
	v_cmp_ge_f32_e64 s[8:9], 0, v12
	v_cndmask_b32_e64 v9, v9, v10, s[8:9]
	v_cmp_lt_f32_e64 s[8:9], 0, v13
	v_cndmask_b32_e64 v9, v9, v11, s[8:9]
	v_mul_f32_e32 v10, 0x37800000, v9
	v_cndmask_b32_e32 v9, v9, v10, vcc
	v_cmp_class_f32_e32 vcc, v8, v2
	v_cndmask_b32_e32 v8, v9, v8, vcc
	v_cmp_nle_f32_e32 vcc, 0, v7
	v_cndmask_b32_e64 v8, |v8|, -|v8|, vcc
	v_add_f32_e32 v7, v7, v8
	v_div_scale_f32 v8, s[8:9], v7, v7, v5
	v_div_scale_f32 v9, vcc, v5, v7, v5
	v_rcp_f32_e32 v10, v8
	v_fma_f32 v11, -v8, v10, 1.0
	v_fmac_f32_e32 v10, v11, v10
	v_mul_f32_e32 v11, v9, v10
	v_fma_f32 v12, -v8, v11, v9
	v_fmac_f32_e32 v11, v12, v10
	v_fma_f32 v8, -v8, v11, v9
	v_div_fmas_f32 v8, v8, v10, v11
	v_div_fixup_f32 v5, v8, v7, v5
	v_sub_f32_e32 v5, v4, v5
	v_sub_f32_e32 v9, v6, v5
	v_mul_f32_e32 v8, v9, v9
	v_mov_b32_e32 v7, 0
	s_cbranch_scc1 .LBB1_98
; %bb.64:                               ;   in Loop: Header=BB1_54 Depth=2
	s_add_u32 s8, s14, s50
	s_addc_u32 s9, s15, s51
	global_load_dword v6, v1, s[8:9] offset:-4
	global_load_dword v11, v1, s[48:49] offset:-4
	s_waitcnt vmcnt(1)
	v_add_f32_e32 v7, v8, v6
	v_div_scale_f32 v10, s[8:9], v7, v7, v8
	v_div_scale_f32 v12, s[8:9], v7, v7, v6
	v_div_scale_f32 v13, vcc, v8, v7, v8
	v_div_scale_f32 v14, s[8:9], v6, v7, v6
	v_rcp_f32_e32 v15, v10
	v_rcp_f32_e32 v16, v12
	v_fma_f32 v17, -v10, v15, 1.0
	v_fmac_f32_e32 v15, v17, v15
	v_fma_f32 v18, -v12, v16, 1.0
	v_fmac_f32_e32 v16, v18, v16
	v_mul_f32_e32 v17, v13, v15
	v_mul_f32_e32 v18, v14, v16
	v_fma_f32 v19, -v10, v17, v13
	v_fma_f32 v20, -v12, v18, v14
	v_fmac_f32_e32 v17, v19, v15
	v_fmac_f32_e32 v18, v20, v16
	v_fma_f32 v10, -v10, v17, v13
	v_fma_f32 v12, -v12, v18, v14
	v_div_fmas_f32 v10, v10, v15, v17
	s_mov_b64 vcc, s[8:9]
	v_div_fmas_f32 v12, v12, v16, v18
	s_waitcnt vmcnt(0)
	v_sub_f32_e32 v13, v11, v5
	v_div_fixup_f32 v8, v10, v7, v8
	v_cmp_eq_f32_e32 vcc, 0, v8
	v_div_fixup_f32 v7, v12, v7, v6
	v_mul_f32_e32 v10, v9, v7
	v_fma_f32 v10, v8, v13, -v10
	v_sub_f32_e32 v11, v11, v10
	v_add_f32_e32 v9, v9, v11
	global_store_dword v1, v9, s[48:49]
	s_cbranch_vccnz .LBB1_66
; %bb.65:                               ;   in Loop: Header=BB1_54 Depth=2
	v_mul_f32_e32 v6, v10, v10
	v_div_scale_f32 v9, s[8:9], v8, v8, v6
	v_div_scale_f32 v11, vcc, v6, v8, v6
	v_rcp_f32_e32 v12, v9
	v_fma_f32 v13, -v9, v12, 1.0
	v_fmac_f32_e32 v12, v13, v12
	v_mul_f32_e32 v13, v11, v12
	v_fma_f32 v14, -v9, v13, v11
	v_fmac_f32_e32 v13, v14, v12
	v_fma_f32 v9, -v9, v13, v11
	v_div_fmas_f32 v9, v9, v12, v13
	v_div_fixup_f32 v6, v9, v8, v6
.LBB1_66:                               ;   in Loop: Header=BB1_54 Depth=2
	s_add_i32 s8, s40, -1
	s_cmp_le_i32 s8, s34
	s_cbranch_scc1 .LBB1_96
; %bb.67:                               ;   in Loop: Header=BB1_54 Depth=2
	s_add_i32 s8, s40, -2
	s_ashr_i32 s9, s8, 31
	s_lshl_b64 s[8:9], s[8:9], 2
	s_add_u32 s50, s63, s8
	s_addc_u32 s51, s64, s9
	s_add_u32 s52, s65, s8
	s_addc_u32 s53, s66, s9
	s_mov_b32 s35, -1
.LBB1_68:                               ;   Parent Loop BB1_3 Depth=1
                                        ;     Parent Loop BB1_54 Depth=2
                                        ; =>    This Inner Loop Header: Depth=3
	global_load_dword v11, v1, s[52:53] offset:-4
	s_add_u32 s48, s52, -4
	s_addc_u32 s49, s53, -1
	s_cmp_eq_u32 s35, 0
	s_waitcnt vmcnt(0)
	v_add_f32_e32 v9, v6, v11
	s_cbranch_scc1 .LBB1_70
; %bb.69:                               ;   in Loop: Header=BB1_68 Depth=3
	v_mul_f32_e32 v7, v7, v9
	global_store_dword v1, v7, s[52:53]
.LBB1_70:                               ;   in Loop: Header=BB1_68 Depth=3
	global_load_dword v13, v1, s[50:51] offset:-4
	v_div_scale_f32 v7, s[8:9], v9, v9, v6
	v_div_scale_f32 v12, s[8:9], v9, v9, v11
	v_div_scale_f32 v14, vcc, v6, v9, v6
	v_div_scale_f32 v15, s[8:9], v11, v9, v11
	v_rcp_f32_e32 v16, v7
	v_rcp_f32_e32 v17, v12
	v_fma_f32 v18, -v7, v16, 1.0
	v_fmac_f32_e32 v16, v18, v16
	v_fma_f32 v19, -v12, v17, 1.0
	v_fmac_f32_e32 v17, v19, v17
	v_mul_f32_e32 v18, v14, v16
	v_mul_f32_e32 v19, v15, v17
	v_fma_f32 v20, -v7, v18, v14
	v_fma_f32 v21, -v12, v19, v15
	v_fmac_f32_e32 v18, v20, v16
	v_fmac_f32_e32 v19, v21, v17
	v_fma_f32 v7, -v7, v18, v14
	v_fma_f32 v12, -v12, v19, v15
	v_div_fmas_f32 v7, v7, v16, v18
	s_mov_b64 vcc, s[8:9]
	v_div_fmas_f32 v14, v12, v17, v19
	s_add_u32 s8, s50, -4
	s_addc_u32 s9, s51, -1
	v_div_fixup_f32 v12, v7, v9, v6
	v_cmp_eq_f32_e32 vcc, 0, v12
	v_div_fixup_f32 v7, v14, v9, v11
	v_mul_f32_e32 v6, v10, v7
	s_and_b64 vcc, exec, vcc
	s_waitcnt vmcnt(0)
	v_sub_f32_e32 v9, v13, v5
	v_fma_f32 v9, v12, v9, -v6
	v_sub_f32_e32 v6, v13, v9
	v_add_f32_e32 v6, v10, v6
	global_store_dword v1, v6, s[50:51]
	s_cbranch_vccz .LBB1_75
; %bb.71:                               ;   in Loop: Header=BB1_68 Depth=3
	v_mul_f32_e32 v6, v8, v11
	s_cbranch_execnz .LBB1_73
.LBB1_72:                               ;   in Loop: Header=BB1_68 Depth=3
	v_mul_f32_e32 v6, v9, v9
	v_div_scale_f32 v8, s[50:51], v12, v12, v6
	v_div_scale_f32 v10, vcc, v6, v12, v6
	v_rcp_f32_e32 v11, v8
	v_fma_f32 v13, -v8, v11, 1.0
	v_fmac_f32_e32 v11, v13, v11
	v_mul_f32_e32 v13, v10, v11
	v_fma_f32 v14, -v8, v13, v10
	v_fmac_f32_e32 v13, v14, v11
	v_fma_f32 v8, -v8, v13, v10
	v_div_fmas_f32 v8, v8, v11, v13
	v_div_fixup_f32 v6, v8, v12, v6
.LBB1_73:                               ;   in Loop: Header=BB1_68 Depth=3
	s_add_i32 s35, s35, -1
	s_add_i32 s41, s40, s35
	s_cmp_le_i32 s41, s34
	s_cbranch_scc1 .LBB1_97
; %bb.74:                               ;   in Loop: Header=BB1_68 Depth=3
	s_mov_b64 s[52:53], s[48:49]
	s_mov_b64 s[50:51], s[8:9]
	v_mov_b32_e32 v8, v12
	v_mov_b32_e32 v10, v9
	s_branch .LBB1_68
.LBB1_75:                               ;   in Loop: Header=BB1_68 Depth=3
                                        ; implicit-def: $vgpr6
	s_branch .LBB1_72
.LBB1_76:                               ;   in Loop: Header=BB1_54 Depth=2
	s_mov_b32 s34, s8
	s_cbranch_execz .LBB1_53
	s_branch .LBB1_100
.LBB1_77:                               ;   in Loop: Header=BB1_54 Depth=2
	s_mov_b64 s[44:45], -1
	s_mov_b64 s[8:9], 0
                                        ; implicit-def: $sgpr35
.LBB1_78:                               ;   in Loop: Header=BB1_54 Depth=2
	s_and_b64 vcc, exec, s[44:45]
	s_cbranch_vccz .LBB1_99
.LBB1_79:                               ;   in Loop: Header=BB1_54 Depth=2
	s_add_u32 s42, s14, s42
	s_addc_u32 s43, s15, s43
	global_load_dword v5, v1, s[42:43]
	s_ashr_i32 s41, s40, 31
	s_lshl_b64 s[8:9], s[40:41], 2
	s_add_u32 s40, s54, s8
	s_addc_u32 s41, s55, s9
	global_load_dword v7, v1, s[40:41]
	s_waitcnt vmcnt(1)
	v_mul_f32_e32 v6, 0x4f800000, v5
	v_cmp_gt_f32_e32 vcc, s68, v5
	v_cndmask_b32_e32 v5, v5, v6, vcc
	v_sqrt_f32_e32 v6, v5
	s_waitcnt vmcnt(0)
	v_sub_f32_e32 v8, v4, v7
	v_add_u32_e32 v9, -1, v6
	v_add_u32_e32 v10, 1, v6
	v_fma_f32 v11, -v9, v6, v5
	v_fma_f32 v12, -v10, v6, v5
	v_cmp_ge_f32_e64 s[8:9], 0, v11
	v_cndmask_b32_e64 v6, v6, v9, s[8:9]
	v_cmp_lt_f32_e64 s[8:9], 0, v12
	v_cndmask_b32_e64 v6, v6, v10, s[8:9]
	v_mul_f32_e32 v9, 0x37800000, v6
	v_cndmask_b32_e32 v6, v6, v9, vcc
	v_cmp_class_f32_e32 vcc, v5, v2
	v_cndmask_b32_e32 v5, v6, v5, vcc
	v_add_f32_e32 v9, v5, v5
	v_cmp_ngt_f32_e64 s[8:9], |v8|, |v9|
	v_and_b32_e32 v10, 0x7fffffff, v9
	s_and_b64 vcc, exec, s[8:9]
	s_cbranch_vccz .LBB1_82
; %bb.80:                               ;   in Loop: Header=BB1_54 Depth=2
	v_cmp_nlt_f32_e64 s[8:9], |v8|, |v9|
	s_and_b64 vcc, exec, s[8:9]
	s_cbranch_vccz .LBB1_83
; %bb.81:                               ;   in Loop: Header=BB1_54 Depth=2
	v_cvt_f64_f32_e32 v[11:12], v10
	v_mul_f64 v[11:12], v[11:12], s[16:17]
	v_cvt_f32_f64_e32 v6, v[11:12]
	s_cbranch_execz .LBB1_84
	s_branch .LBB1_85
.LBB1_82:                               ;   in Loop: Header=BB1_54 Depth=2
                                        ; implicit-def: $vgpr6
	s_branch .LBB1_86
.LBB1_83:                               ;   in Loop: Header=BB1_54 Depth=2
                                        ; implicit-def: $vgpr6
.LBB1_84:                               ;   in Loop: Header=BB1_54 Depth=2
	v_and_b32_e32 v6, 0x7fffffff, v8
	v_div_scale_f32 v11, s[8:9], v10, v10, v6
	v_div_scale_f32 v6, vcc, v6, v10, v6
	v_rcp_f32_e32 v12, v11
	v_fma_f32 v13, -v11, v12, 1.0
	v_fmac_f32_e32 v12, v13, v12
	v_mul_f32_e32 v13, v6, v12
	v_fma_f32 v14, -v11, v13, v6
	v_fmac_f32_e32 v13, v14, v12
	v_fma_f32 v6, -v11, v13, v6
	v_div_fmas_f32 v6, v6, v12, v13
	v_div_fixup_f32 v6, v6, |v9|, |v8|
	v_fma_f32 v6, v6, v6, 1.0
	v_mul_f32_e32 v11, 0x4f800000, v6
	v_cmp_gt_f32_e32 vcc, s68, v6
	v_cndmask_b32_e32 v6, v6, v11, vcc
	v_sqrt_f32_e32 v11, v6
	v_add_u32_e32 v12, -1, v11
	v_add_u32_e32 v13, 1, v11
	v_fma_f32 v14, -v12, v11, v6
	v_fma_f32 v15, -v13, v11, v6
	v_cmp_ge_f32_e64 s[8:9], 0, v14
	v_cndmask_b32_e64 v11, v11, v12, s[8:9]
	v_cmp_lt_f32_e64 s[8:9], 0, v15
	v_cndmask_b32_e64 v11, v11, v13, s[8:9]
	v_mul_f32_e32 v12, 0x37800000, v11
	v_cndmask_b32_e32 v11, v11, v12, vcc
	v_cmp_class_f32_e32 vcc, v6, v2
	v_cndmask_b32_e32 v6, v11, v6, vcc
	v_mul_f32_e64 v6, |v9|, v6
.LBB1_85:                               ;   in Loop: Header=BB1_54 Depth=2
	s_cbranch_execnz .LBB1_87
.LBB1_86:                               ;   in Loop: Header=BB1_54 Depth=2
	v_and_b32_e32 v6, 0x7fffffff, v8
	v_div_scale_f32 v11, s[8:9], v6, v6, v10
	v_div_scale_f32 v6, vcc, v10, v6, v10
	v_rcp_f32_e32 v10, v11
	v_fma_f32 v12, -v11, v10, 1.0
	v_fmac_f32_e32 v10, v12, v10
	v_mul_f32_e32 v12, v6, v10
	v_fma_f32 v13, -v11, v12, v6
	v_fmac_f32_e32 v12, v13, v10
	v_fma_f32 v6, -v11, v12, v6
	v_div_fmas_f32 v6, v6, v10, v12
	v_div_fixup_f32 v6, v6, |v8|, |v9|
	v_fma_f32 v6, v6, v6, 1.0
	v_mul_f32_e32 v9, 0x4f800000, v6
	v_cmp_gt_f32_e32 vcc, s68, v6
	v_cndmask_b32_e32 v6, v6, v9, vcc
	v_sqrt_f32_e32 v9, v6
	v_add_u32_e32 v10, -1, v9
	v_add_u32_e32 v11, 1, v9
	v_fma_f32 v12, -v10, v9, v6
	v_fma_f32 v13, -v11, v9, v6
	v_cmp_ge_f32_e64 s[8:9], 0, v12
	v_cndmask_b32_e64 v9, v9, v10, s[8:9]
	v_cmp_lt_f32_e64 s[8:9], 0, v13
	v_cndmask_b32_e64 v9, v9, v11, s[8:9]
	v_mul_f32_e32 v10, 0x37800000, v9
	v_cndmask_b32_e32 v9, v9, v10, vcc
	v_cmp_class_f32_e32 vcc, v6, v2
	v_cndmask_b32_e32 v6, v9, v6, vcc
	v_mul_f32_e64 v6, |v8|, v6
.LBB1_87:                               ;   in Loop: Header=BB1_54 Depth=2
	v_add_f32_e32 v9, v4, v7
	v_cmp_gt_f32_e64 vcc, |v4|, |v7|
	v_cndmask_b32_e32 v8, v4, v7, vcc
	v_cndmask_b32_e32 v7, v7, v4, vcc
	v_cmp_ngt_f32_e32 vcc, 0, v9
	s_cbranch_vccz .LBB1_90
; %bb.88:                               ;   in Loop: Header=BB1_54 Depth=2
	v_cmp_nlt_f32_e32 vcc, 0, v9
	s_cbranch_vccz .LBB1_91
; %bb.89:                               ;   in Loop: Header=BB1_54 Depth=2
	v_mul_f32_e32 v4, 0.5, v6
	v_mul_f32_e32 v10, -0.5, v6
	s_cbranch_execz .LBB1_92
	s_branch .LBB1_93
.LBB1_90:                               ;   in Loop: Header=BB1_54 Depth=2
                                        ; implicit-def: $vgpr10
                                        ; implicit-def: $vgpr4
	s_branch .LBB1_94
.LBB1_91:                               ;   in Loop: Header=BB1_54 Depth=2
                                        ; implicit-def: $vgpr10
                                        ; implicit-def: $vgpr4
.LBB1_92:                               ;   in Loop: Header=BB1_54 Depth=2
	v_add_f32_e32 v4, v9, v6
	v_mul_f32_e32 v4, 0.5, v4
	v_cvt_f64_f32_e32 v[10:11], v7
	v_cvt_f64_f32_e32 v[12:13], v4
	v_div_scale_f64 v[14:15], s[8:9], v[12:13], v[12:13], v[10:11]
	v_rcp_f64_e32 v[16:17], v[14:15]
	v_fma_f64 v[18:19], -v[14:15], v[16:17], 1.0
	v_fma_f64 v[16:17], v[16:17], v[18:19], v[16:17]
	v_fma_f64 v[18:19], -v[14:15], v[16:17], 1.0
	v_fma_f64 v[16:17], v[16:17], v[18:19], v[16:17]
	v_div_scale_f64 v[18:19], vcc, v[10:11], v[12:13], v[10:11]
	v_mul_f64 v[20:21], v[18:19], v[16:17]
	v_fma_f64 v[14:15], -v[14:15], v[20:21], v[18:19]
	s_nop 1
	v_div_fmas_f64 v[14:15], v[14:15], v[16:17], v[20:21]
	v_cvt_f64_f32_e32 v[16:17], v5
	v_div_scale_f64 v[18:19], s[8:9], v[12:13], v[12:13], v[16:17]
	v_div_fixup_f64 v[10:11], v[14:15], v[12:13], v[10:11]
	v_cvt_f64_f32_e32 v[14:15], v8
	v_rcp_f64_e32 v[20:21], v[18:19]
	v_fma_f64 v[22:23], -v[18:19], v[20:21], 1.0
	v_fma_f64 v[20:21], v[20:21], v[22:23], v[20:21]
	v_fma_f64 v[22:23], -v[18:19], v[20:21], 1.0
	v_fma_f64 v[20:21], v[20:21], v[22:23], v[20:21]
	v_div_scale_f64 v[22:23], vcc, v[16:17], v[12:13], v[16:17]
	v_mul_f64 v[24:25], v[22:23], v[20:21]
	v_fma_f64 v[18:19], -v[18:19], v[24:25], v[22:23]
	s_nop 1
	v_div_fmas_f64 v[18:19], v[18:19], v[20:21], v[24:25]
	v_div_fixup_f64 v[12:13], v[18:19], v[12:13], v[16:17]
	v_mul_f64 v[12:13], v[12:13], v[16:17]
	v_fma_f64 v[10:11], v[10:11], v[14:15], -v[12:13]
	v_cvt_f32_f64_e32 v10, v[10:11]
.LBB1_93:                               ;   in Loop: Header=BB1_54 Depth=2
	s_cbranch_execnz .LBB1_95
.LBB1_94:                               ;   in Loop: Header=BB1_54 Depth=2
	v_sub_f32_e32 v4, v9, v6
	v_mul_f32_e32 v4, 0.5, v4
	v_cvt_f64_f32_e32 v[6:7], v7
	v_cvt_f64_f32_e32 v[9:10], v4
	v_div_scale_f64 v[11:12], s[8:9], v[9:10], v[9:10], v[6:7]
	v_rcp_f64_e32 v[13:14], v[11:12]
	v_fma_f64 v[15:16], -v[11:12], v[13:14], 1.0
	v_fma_f64 v[13:14], v[13:14], v[15:16], v[13:14]
	v_fma_f64 v[15:16], -v[11:12], v[13:14], 1.0
	v_fma_f64 v[13:14], v[13:14], v[15:16], v[13:14]
	v_div_scale_f64 v[15:16], vcc, v[6:7], v[9:10], v[6:7]
	v_mul_f64 v[17:18], v[15:16], v[13:14]
	v_fma_f64 v[11:12], -v[11:12], v[17:18], v[15:16]
	s_nop 1
	v_div_fmas_f64 v[11:12], v[11:12], v[13:14], v[17:18]
	v_cvt_f64_f32_e32 v[13:14], v5
	v_div_scale_f64 v[15:16], s[8:9], v[9:10], v[9:10], v[13:14]
	v_div_fixup_f64 v[6:7], v[11:12], v[9:10], v[6:7]
	v_cvt_f64_f32_e32 v[11:12], v8
	v_rcp_f64_e32 v[17:18], v[15:16]
	v_fma_f64 v[19:20], -v[15:16], v[17:18], 1.0
	v_fma_f64 v[17:18], v[17:18], v[19:20], v[17:18]
	v_fma_f64 v[19:20], -v[15:16], v[17:18], 1.0
	v_fma_f64 v[17:18], v[17:18], v[19:20], v[17:18]
	v_div_scale_f64 v[19:20], vcc, v[13:14], v[9:10], v[13:14]
	v_mul_f64 v[21:22], v[19:20], v[17:18]
	v_fma_f64 v[15:16], -v[15:16], v[21:22], v[19:20]
	s_nop 1
	v_div_fmas_f64 v[15:16], v[15:16], v[17:18], v[21:22]
	v_div_fixup_f64 v[8:9], v[15:16], v[9:10], v[13:14]
	v_mul_f64 v[8:9], v[8:9], v[13:14]
	v_fma_f64 v[5:6], v[6:7], v[11:12], -v[8:9]
	v_cvt_f32_f64_e32 v10, v[5:6]
.LBB1_95:                               ;   in Loop: Header=BB1_54 Depth=2
	global_store_dword v1, v4, s[38:39]
	global_store_dword v1, v10, s[40:41]
	;; [unrolled: 1-line block ×3, first 2 shown]
	s_add_i32 s34, s34, 2
	s_cbranch_execz .LBB1_53
	s_branch .LBB1_100
.LBB1_96:                               ;   in Loop: Header=BB1_54 Depth=2
	v_mov_b32_e32 v9, v10
.LBB1_97:                               ;   in Loop: Header=BB1_54 Depth=2
	v_mov_b32_e32 v8, v6
.LBB1_98:                               ;   in Loop: Header=BB1_54 Depth=2
	v_mul_f32_e32 v6, v7, v8
	v_add_f32_e32 v5, v5, v9
	s_add_i32 s35, s31, 1
	global_store_dword v1, v6, s[46:47]
	global_store_dword v1, v5, s[38:39]
	s_mov_b64 s[8:9], -1
	s_and_b64 vcc, exec, s[44:45]
	s_cbranch_vccnz .LBB1_79
.LBB1_99:                               ;   in Loop: Header=BB1_54 Depth=2
	s_mov_b32 s31, s35
	s_and_b64 vcc, exec, s[8:9]
	s_cbranch_vccz .LBB1_53
.LBB1_100:                              ;   in Loop: Header=BB1_54 Depth=2
	s_cmp_gt_i32 s34, s25
	s_cselect_b64 s[8:9], -1, 0
	s_cmp_ge_i32 s31, s20
	s_cselect_b64 s[36:37], -1, 0
	s_or_b64 s[36:37], s[8:9], s[36:37]
	s_branch .LBB1_53
.LBB1_101:                              ;   in Loop: Header=BB1_102 Depth=2
	s_andn2_b64 vcc, exec, s[8:9]
	s_cbranch_vccz .LBB1_43
.LBB1_102:                              ;   Parent Loop BB1_3 Depth=1
                                        ; =>  This Loop Header: Depth=2
                                        ;       Child Loop BB1_104 Depth 3
                                        ;       Child Loop BB1_117 Depth 3
	s_ashr_i32 s31, s30, 31
	s_min_i32 s36, s25, s30
	s_lshl_b64 s[2:3], s[30:31], 2
	s_add_u32 s34, s61, s2
	s_addc_u32 s35, s62, s3
	s_add_u32 s8, s65, s2
	s_addc_u32 s9, s66, s3
	s_mov_b32 s31, s30
	s_mov_b64 s[38:39], -1
	s_cmp_le_i32 s31, s25
	s_mov_b64 s[40:41], -1
                                        ; implicit-def: $sgpr37
	s_cbranch_scc1 .LBB1_104
.LBB1_103:                              ;   in Loop: Header=BB1_102 Depth=2
	global_load_dwordx2 v[4:5], v1, s[34:35] offset:-4
	global_load_dword v6, v1, s[8:9] offset:-8
	s_add_i32 s37, s31, -1
	s_add_u32 s34, s34, -4
	s_addc_u32 s35, s35, -1
	s_add_u32 s8, s8, -4
	s_mov_b64 s[38:39], 0
	s_addc_u32 s9, s9, -1
	s_waitcnt vmcnt(1)
	v_mul_f32_e32 v4, v5, v4
	v_mul_f32_e64 v4, v0, |v4|
	s_waitcnt vmcnt(0)
	v_cmp_le_f32_e64 s[40:41], |v6|, v4
.LBB1_104:                              ;   Parent Loop BB1_3 Depth=1
                                        ;     Parent Loop BB1_102 Depth=2
                                        ; =>    This Inner Loop Header: Depth=3
	s_andn2_b64 vcc, exec, s[40:41]
	s_cbranch_vccz .LBB1_106
; %bb.105:                              ;   in Loop: Header=BB1_104 Depth=3
	s_mov_b32 s31, s37
	s_mov_b64 s[38:39], -1
	s_cmp_le_i32 s31, s25
	s_mov_b64 s[40:41], -1
                                        ; implicit-def: $sgpr37
	s_cbranch_scc0 .LBB1_103
	s_branch .LBB1_104
.LBB1_106:                              ;   in Loop: Header=BB1_102 Depth=2
	s_andn2_b64 vcc, exec, s[38:39]
	s_cbranch_vccz .LBB1_108
; %bb.107:                              ;   in Loop: Header=BB1_102 Depth=2
	s_mov_b32 s36, s31
	global_store_dword v1, v1, s[8:9] offset:-4
.LBB1_108:                              ;   in Loop: Header=BB1_102 Depth=2
	s_add_i32 s31, s30, -1
	s_cmp_eq_u32 s36, s30
	s_mov_b64 s[8:9], -1
	s_cbranch_scc1 .LBB1_123
; %bb.109:                              ;   in Loop: Header=BB1_102 Depth=2
	s_add_u32 s34, s54, s2
	s_addc_u32 s35, s55, s3
	global_load_dword v4, v1, s[34:35]
	s_cmp_lg_u32 s36, s31
	s_cbranch_scc0 .LBB1_124
; %bb.110:                              ;   in Loop: Header=BB1_102 Depth=2
	s_mov_b64 s[38:39], 0
	s_cmp_lg_u32 s70, s20
	s_mov_b32 s31, s20
	s_mov_b64 s[40:41], 0
	s_cbranch_scc0 .LBB1_125
; %bb.111:                              ;   in Loop: Header=BB1_102 Depth=2
	s_add_u32 s40, s14, s2
	s_addc_u32 s41, s15, s3
	global_load_dword v5, v1, s[40:41] offset:-4
	s_ashr_i32 s37, s36, 31
	s_lshl_b64 s[44:45], s[36:37], 2
	s_add_u32 s42, s54, s44
	s_addc_u32 s43, s55, s45
	global_load_dword v6, v1, s[42:43]
	global_load_dword v7, v1, s[34:35] offset:-4
	s_cmp_ge_i32 s36, s30
	s_waitcnt vmcnt(2)
	v_mul_f32_e32 v8, 0x4f800000, v5
	v_cmp_gt_f32_e32 vcc, s68, v5
	v_cndmask_b32_e32 v5, v5, v8, vcc
	v_sqrt_f32_e32 v8, v5
	s_waitcnt vmcnt(0)
	v_sub_f32_e32 v7, v7, v4
	v_add_u32_e32 v9, -1, v8
	v_add_u32_e32 v10, 1, v8
	v_fma_f32 v11, -v9, v8, v5
	v_fma_f32 v12, -v10, v8, v5
	v_cmp_ge_f32_e64 s[2:3], 0, v11
	v_cndmask_b32_e64 v8, v8, v9, s[2:3]
	v_cmp_lt_f32_e64 s[2:3], 0, v12
	v_cndmask_b32_e64 v8, v8, v10, s[2:3]
	v_mul_f32_e32 v9, 0x37800000, v8
	v_cndmask_b32_e32 v8, v8, v9, vcc
	v_cmp_class_f32_e32 vcc, v5, v2
	v_cndmask_b32_e32 v5, v8, v5, vcc
	v_add_f32_e32 v8, v5, v5
	v_div_scale_f32 v9, s[2:3], v8, v8, v7
	v_div_scale_f32 v10, vcc, v7, v8, v7
	v_rcp_f32_e32 v11, v9
	v_fma_f32 v12, -v9, v11, 1.0
	v_fmac_f32_e32 v11, v12, v11
	v_mul_f32_e32 v12, v10, v11
	v_fma_f32 v13, -v9, v12, v10
	v_fmac_f32_e32 v12, v13, v11
	v_fma_f32 v9, -v9, v12, v10
	v_div_fmas_f32 v9, v9, v11, v12
	v_div_fixup_f32 v7, v9, v8, v7
	v_fma_f32 v8, v7, v7, 1.0
	v_mul_f32_e32 v9, 0x4f800000, v8
	v_cmp_gt_f32_e32 vcc, s68, v8
	v_cndmask_b32_e32 v8, v8, v9, vcc
	v_sqrt_f32_e32 v9, v8
	v_add_u32_e32 v10, -1, v9
	v_add_u32_e32 v11, 1, v9
	v_fma_f32 v12, -v10, v9, v8
	v_fma_f32 v13, -v11, v9, v8
	v_cmp_ge_f32_e64 s[2:3], 0, v12
	v_cndmask_b32_e64 v9, v9, v10, s[2:3]
	v_cmp_lt_f32_e64 s[2:3], 0, v13
	v_cndmask_b32_e64 v9, v9, v11, s[2:3]
	v_mul_f32_e32 v10, 0x37800000, v9
	v_cndmask_b32_e32 v9, v9, v10, vcc
	v_cmp_class_f32_e32 vcc, v8, v2
	v_cndmask_b32_e32 v8, v9, v8, vcc
	v_cmp_nle_f32_e32 vcc, 0, v7
	v_cndmask_b32_e64 v8, |v8|, -|v8|, vcc
	v_add_f32_e32 v7, v7, v8
	v_div_scale_f32 v8, s[2:3], v7, v7, v5
	v_div_scale_f32 v9, vcc, v5, v7, v5
	v_rcp_f32_e32 v10, v8
	v_fma_f32 v11, -v8, v10, 1.0
	v_fmac_f32_e32 v10, v11, v10
	v_mul_f32_e32 v11, v9, v10
	v_fma_f32 v12, -v8, v11, v9
	v_fmac_f32_e32 v11, v12, v10
	v_fma_f32 v8, -v8, v11, v9
	v_div_fmas_f32 v8, v8, v10, v11
	v_div_fixup_f32 v5, v8, v7, v5
	v_sub_f32_e32 v5, v4, v5
	v_sub_f32_e32 v8, v6, v5
	v_mul_f32_e32 v9, v8, v8
	v_mov_b32_e32 v7, 0
	s_cbranch_scc1 .LBB1_145
; %bb.112:                              ;   in Loop: Header=BB1_102 Depth=2
	s_add_u32 s2, s14, s44
	s_addc_u32 s3, s15, s45
	global_load_dword v6, v1, s[2:3]
	global_load_dword v11, v1, s[42:43] offset:4
	s_waitcnt vmcnt(1)
	v_add_f32_e32 v7, v9, v6
	v_div_scale_f32 v10, s[2:3], v7, v7, v9
	v_div_scale_f32 v12, s[2:3], v7, v7, v6
	v_div_scale_f32 v13, vcc, v9, v7, v9
	v_div_scale_f32 v14, s[2:3], v6, v7, v6
	v_rcp_f32_e32 v15, v10
	v_rcp_f32_e32 v16, v12
	v_fma_f32 v17, -v10, v15, 1.0
	v_fmac_f32_e32 v15, v17, v15
	v_fma_f32 v18, -v12, v16, 1.0
	v_fmac_f32_e32 v16, v18, v16
	v_mul_f32_e32 v17, v13, v15
	v_mul_f32_e32 v18, v14, v16
	v_fma_f32 v19, -v10, v17, v13
	v_fma_f32 v20, -v12, v18, v14
	v_fmac_f32_e32 v17, v19, v15
	v_fmac_f32_e32 v18, v20, v16
	v_fma_f32 v10, -v10, v17, v13
	v_fma_f32 v12, -v12, v18, v14
	v_div_fmas_f32 v10, v10, v15, v17
	s_mov_b64 vcc, s[2:3]
	v_div_fmas_f32 v12, v12, v16, v18
	s_waitcnt vmcnt(0)
	v_sub_f32_e32 v13, v11, v5
	v_div_fixup_f32 v9, v10, v7, v9
	v_cmp_eq_f32_e32 vcc, 0, v9
	v_div_fixup_f32 v7, v12, v7, v6
	v_mul_f32_e32 v10, v8, v7
	v_fma_f32 v10, v9, v13, -v10
	v_sub_f32_e32 v11, v11, v10
	v_add_f32_e32 v8, v8, v11
	global_store_dword v1, v8, s[42:43]
	s_cbranch_vccnz .LBB1_114
; %bb.113:                              ;   in Loop: Header=BB1_102 Depth=2
	v_mul_f32_e32 v6, v10, v10
	v_div_scale_f32 v8, s[2:3], v9, v9, v6
	v_div_scale_f32 v11, vcc, v6, v9, v6
	v_rcp_f32_e32 v12, v8
	v_fma_f32 v13, -v8, v12, 1.0
	v_fmac_f32_e32 v12, v13, v12
	v_mul_f32_e32 v13, v11, v12
	v_fma_f32 v14, -v8, v13, v11
	v_fmac_f32_e32 v13, v14, v12
	v_fma_f32 v8, -v8, v13, v11
	v_div_fmas_f32 v8, v8, v12, v13
	v_div_fixup_f32 v6, v8, v9, v6
.LBB1_114:                              ;   in Loop: Header=BB1_102 Depth=2
	s_add_i32 s2, s36, 1
	s_cmp_ge_i32 s2, s30
	s_cbranch_scc1 .LBB1_143
; %bb.115:                              ;   in Loop: Header=BB1_102 Depth=2
	s_ashr_i32 s3, s2, 31
	s_lshl_b64 s[2:3], s[2:3], 2
	s_add_u32 s42, s57, s2
	s_addc_u32 s43, s58, s3
	s_add_u32 s44, s63, s2
	s_addc_u32 s45, s64, s3
	s_mov_b32 s31, 1
	global_load_dword v11, v1, s[42:43]
	s_cmp_eq_u32 s31, 0
	s_waitcnt vmcnt(0)
	v_add_f32_e32 v8, v6, v11
	s_cbranch_scc1 .LBB1_117
.LBB1_116:                              ;   in Loop: Header=BB1_102 Depth=2
	v_mul_f32_e32 v7, v7, v8
	global_store_dword v1, v7, s[42:43] offset:-4
.LBB1_117:                              ;   Parent Loop BB1_3 Depth=1
                                        ;     Parent Loop BB1_102 Depth=2
                                        ; =>    This Inner Loop Header: Depth=3
	global_load_dword v13, v1, s[44:45]
	v_div_scale_f32 v7, s[2:3], v8, v8, v6
	v_div_scale_f32 v12, s[2:3], v8, v8, v11
	v_div_scale_f32 v14, vcc, v6, v8, v6
	v_div_scale_f32 v15, s[2:3], v11, v8, v11
	v_rcp_f32_e32 v16, v7
	v_rcp_f32_e32 v17, v12
	v_fma_f32 v18, -v7, v16, 1.0
	v_fmac_f32_e32 v16, v18, v16
	v_fma_f32 v19, -v12, v17, 1.0
	v_fmac_f32_e32 v17, v19, v17
	v_mul_f32_e32 v18, v14, v16
	v_mul_f32_e32 v19, v15, v17
	v_fma_f32 v20, -v7, v18, v14
	v_fma_f32 v21, -v12, v19, v15
	v_fmac_f32_e32 v18, v20, v16
	v_fmac_f32_e32 v19, v21, v17
	v_fma_f32 v7, -v7, v18, v14
	v_fma_f32 v12, -v12, v19, v15
	v_div_fmas_f32 v7, v7, v16, v18
	s_mov_b64 vcc, s[2:3]
	v_div_fmas_f32 v14, v12, v17, v19
	v_div_fixup_f32 v12, v7, v8, v6
	v_cmp_eq_f32_e32 vcc, 0, v12
	v_div_fixup_f32 v7, v14, v8, v11
	v_mul_f32_e32 v6, v10, v7
	s_and_b64 vcc, exec, vcc
	s_waitcnt vmcnt(0)
	v_sub_f32_e32 v8, v13, v5
	v_fma_f32 v8, v12, v8, -v6
	v_sub_f32_e32 v6, v13, v8
	v_add_f32_e32 v6, v10, v6
	global_store_dword v1, v6, s[44:45] offset:-4
	s_cbranch_vccz .LBB1_122
; %bb.118:                              ;   in Loop: Header=BB1_117 Depth=3
	v_mul_f32_e32 v6, v9, v11
	s_cbranch_execnz .LBB1_120
.LBB1_119:                              ;   in Loop: Header=BB1_117 Depth=3
	v_mul_f32_e32 v6, v8, v8
	v_div_scale_f32 v9, s[2:3], v12, v12, v6
	v_div_scale_f32 v10, vcc, v6, v12, v6
	v_rcp_f32_e32 v11, v9
	v_fma_f32 v13, -v9, v11, 1.0
	v_fmac_f32_e32 v11, v13, v11
	v_mul_f32_e32 v13, v10, v11
	v_fma_f32 v14, -v9, v13, v10
	v_fmac_f32_e32 v13, v14, v11
	v_fma_f32 v9, -v9, v13, v10
	v_div_fmas_f32 v9, v9, v11, v13
	v_div_fixup_f32 v6, v9, v12, v6
.LBB1_120:                              ;   in Loop: Header=BB1_117 Depth=3
	s_add_i32 s31, s31, 1
	s_add_i32 s2, s36, s31
	s_add_u32 s42, s42, 4
	s_addc_u32 s43, s43, 0
	s_add_u32 s44, s44, 4
	s_addc_u32 s45, s45, 0
	s_cmp_ge_i32 s2, s30
	s_cbranch_scc1 .LBB1_144
; %bb.121:                              ;   in Loop: Header=BB1_117 Depth=3
	v_mov_b32_e32 v9, v12
	v_mov_b32_e32 v10, v8
	global_load_dword v11, v1, s[42:43]
	s_cmp_eq_u32 s31, 0
	s_waitcnt vmcnt(0)
	v_add_f32_e32 v8, v6, v11
	s_cbranch_scc0 .LBB1_116
	s_branch .LBB1_117
.LBB1_122:                              ;   in Loop: Header=BB1_117 Depth=3
                                        ; implicit-def: $vgpr6
	s_branch .LBB1_119
.LBB1_123:                              ;   in Loop: Header=BB1_102 Depth=2
	s_mov_b32 s30, s31
	s_cbranch_execz .LBB1_101
	s_branch .LBB1_147
.LBB1_124:                              ;   in Loop: Header=BB1_102 Depth=2
	s_mov_b64 s[38:39], -1
	s_mov_b64 s[40:41], 0
                                        ; implicit-def: $sgpr31
.LBB1_125:                              ;   in Loop: Header=BB1_102 Depth=2
	s_and_b64 vcc, exec, s[38:39]
	s_cbranch_vccz .LBB1_146
.LBB1_126:                              ;   in Loop: Header=BB1_102 Depth=2
	s_ashr_i32 s37, s36, 31
	s_lshl_b64 s[2:3], s[36:37], 2
	s_add_u32 s36, s14, s2
	s_addc_u32 s37, s15, s3
	global_load_dword v5, v1, s[36:37]
	s_add_u32 s38, s54, s2
	s_addc_u32 s39, s55, s3
	global_load_dword v7, v1, s[38:39]
	s_waitcnt vmcnt(1)
	v_mul_f32_e32 v6, 0x4f800000, v5
	v_cmp_gt_f32_e32 vcc, s68, v5
	v_cndmask_b32_e32 v5, v5, v6, vcc
	v_sqrt_f32_e32 v6, v5
	s_waitcnt vmcnt(0)
	v_sub_f32_e32 v8, v4, v7
	v_add_u32_e32 v9, -1, v6
	v_add_u32_e32 v10, 1, v6
	v_fma_f32 v11, -v9, v6, v5
	v_fma_f32 v12, -v10, v6, v5
	v_cmp_ge_f32_e64 s[2:3], 0, v11
	v_cndmask_b32_e64 v6, v6, v9, s[2:3]
	v_cmp_lt_f32_e64 s[2:3], 0, v12
	v_cndmask_b32_e64 v6, v6, v10, s[2:3]
	v_mul_f32_e32 v9, 0x37800000, v6
	v_cndmask_b32_e32 v6, v6, v9, vcc
	v_cmp_class_f32_e32 vcc, v5, v2
	v_cndmask_b32_e32 v5, v6, v5, vcc
	v_add_f32_e32 v9, v5, v5
	v_cmp_ngt_f32_e64 s[2:3], |v8|, |v9|
	v_and_b32_e32 v10, 0x7fffffff, v9
	s_and_b64 vcc, exec, s[2:3]
	s_cbranch_vccz .LBB1_129
; %bb.127:                              ;   in Loop: Header=BB1_102 Depth=2
	v_cmp_nlt_f32_e64 s[2:3], |v8|, |v9|
	s_and_b64 vcc, exec, s[2:3]
	s_cbranch_vccz .LBB1_130
; %bb.128:                              ;   in Loop: Header=BB1_102 Depth=2
	v_cvt_f64_f32_e32 v[11:12], v10
	v_mul_f64 v[11:12], v[11:12], s[16:17]
	v_cvt_f32_f64_e32 v6, v[11:12]
	s_cbranch_execz .LBB1_131
	s_branch .LBB1_132
.LBB1_129:                              ;   in Loop: Header=BB1_102 Depth=2
                                        ; implicit-def: $vgpr6
	s_branch .LBB1_133
.LBB1_130:                              ;   in Loop: Header=BB1_102 Depth=2
                                        ; implicit-def: $vgpr6
.LBB1_131:                              ;   in Loop: Header=BB1_102 Depth=2
	v_and_b32_e32 v6, 0x7fffffff, v8
	v_div_scale_f32 v11, s[2:3], v10, v10, v6
	v_div_scale_f32 v6, vcc, v6, v10, v6
	v_rcp_f32_e32 v12, v11
	v_fma_f32 v13, -v11, v12, 1.0
	v_fmac_f32_e32 v12, v13, v12
	v_mul_f32_e32 v13, v6, v12
	v_fma_f32 v14, -v11, v13, v6
	v_fmac_f32_e32 v13, v14, v12
	v_fma_f32 v6, -v11, v13, v6
	v_div_fmas_f32 v6, v6, v12, v13
	v_div_fixup_f32 v6, v6, |v9|, |v8|
	v_fma_f32 v6, v6, v6, 1.0
	v_mul_f32_e32 v11, 0x4f800000, v6
	v_cmp_gt_f32_e32 vcc, s68, v6
	v_cndmask_b32_e32 v6, v6, v11, vcc
	v_sqrt_f32_e32 v11, v6
	v_add_u32_e32 v12, -1, v11
	v_add_u32_e32 v13, 1, v11
	v_fma_f32 v14, -v12, v11, v6
	v_fma_f32 v15, -v13, v11, v6
	v_cmp_ge_f32_e64 s[2:3], 0, v14
	v_cndmask_b32_e64 v11, v11, v12, s[2:3]
	v_cmp_lt_f32_e64 s[2:3], 0, v15
	v_cndmask_b32_e64 v11, v11, v13, s[2:3]
	v_mul_f32_e32 v12, 0x37800000, v11
	v_cndmask_b32_e32 v11, v11, v12, vcc
	v_cmp_class_f32_e32 vcc, v6, v2
	v_cndmask_b32_e32 v6, v11, v6, vcc
	v_mul_f32_e64 v6, |v9|, v6
.LBB1_132:                              ;   in Loop: Header=BB1_102 Depth=2
	s_cbranch_execnz .LBB1_134
.LBB1_133:                              ;   in Loop: Header=BB1_102 Depth=2
	v_and_b32_e32 v6, 0x7fffffff, v8
	v_div_scale_f32 v11, s[2:3], v6, v6, v10
	v_div_scale_f32 v6, vcc, v10, v6, v10
	v_rcp_f32_e32 v10, v11
	v_fma_f32 v12, -v11, v10, 1.0
	v_fmac_f32_e32 v10, v12, v10
	v_mul_f32_e32 v12, v6, v10
	v_fma_f32 v13, -v11, v12, v6
	v_fmac_f32_e32 v12, v13, v10
	v_fma_f32 v6, -v11, v12, v6
	v_div_fmas_f32 v6, v6, v10, v12
	v_div_fixup_f32 v6, v6, |v8|, |v9|
	v_fma_f32 v6, v6, v6, 1.0
	v_mul_f32_e32 v9, 0x4f800000, v6
	v_cmp_gt_f32_e32 vcc, s68, v6
	v_cndmask_b32_e32 v6, v6, v9, vcc
	v_sqrt_f32_e32 v9, v6
	v_add_u32_e32 v10, -1, v9
	v_add_u32_e32 v11, 1, v9
	v_fma_f32 v12, -v10, v9, v6
	v_fma_f32 v13, -v11, v9, v6
	v_cmp_ge_f32_e64 s[2:3], 0, v12
	v_cndmask_b32_e64 v9, v9, v10, s[2:3]
	v_cmp_lt_f32_e64 s[2:3], 0, v13
	v_cndmask_b32_e64 v9, v9, v11, s[2:3]
	v_mul_f32_e32 v10, 0x37800000, v9
	v_cndmask_b32_e32 v9, v9, v10, vcc
	v_cmp_class_f32_e32 vcc, v6, v2
	v_cndmask_b32_e32 v6, v9, v6, vcc
	v_mul_f32_e64 v6, |v8|, v6
.LBB1_134:                              ;   in Loop: Header=BB1_102 Depth=2
	v_add_f32_e32 v9, v4, v7
	v_cmp_gt_f32_e64 vcc, |v4|, |v7|
	v_cndmask_b32_e32 v8, v4, v7, vcc
	v_cndmask_b32_e32 v7, v7, v4, vcc
	v_cmp_ngt_f32_e32 vcc, 0, v9
	s_cbranch_vccz .LBB1_137
; %bb.135:                              ;   in Loop: Header=BB1_102 Depth=2
	v_cmp_nlt_f32_e32 vcc, 0, v9
	s_cbranch_vccz .LBB1_138
; %bb.136:                              ;   in Loop: Header=BB1_102 Depth=2
	v_mul_f32_e32 v4, 0.5, v6
	v_mul_f32_e32 v10, -0.5, v6
	s_cbranch_execz .LBB1_139
	s_branch .LBB1_140
.LBB1_137:                              ;   in Loop: Header=BB1_102 Depth=2
                                        ; implicit-def: $vgpr10
                                        ; implicit-def: $vgpr4
	s_branch .LBB1_141
.LBB1_138:                              ;   in Loop: Header=BB1_102 Depth=2
                                        ; implicit-def: $vgpr10
                                        ; implicit-def: $vgpr4
.LBB1_139:                              ;   in Loop: Header=BB1_102 Depth=2
	v_add_f32_e32 v4, v9, v6
	v_mul_f32_e32 v4, 0.5, v4
	v_cvt_f64_f32_e32 v[10:11], v7
	v_cvt_f64_f32_e32 v[12:13], v4
	v_div_scale_f64 v[14:15], s[2:3], v[12:13], v[12:13], v[10:11]
	v_rcp_f64_e32 v[16:17], v[14:15]
	v_fma_f64 v[18:19], -v[14:15], v[16:17], 1.0
	v_fma_f64 v[16:17], v[16:17], v[18:19], v[16:17]
	v_fma_f64 v[18:19], -v[14:15], v[16:17], 1.0
	v_fma_f64 v[16:17], v[16:17], v[18:19], v[16:17]
	v_div_scale_f64 v[18:19], vcc, v[10:11], v[12:13], v[10:11]
	v_mul_f64 v[20:21], v[18:19], v[16:17]
	v_fma_f64 v[14:15], -v[14:15], v[20:21], v[18:19]
	s_nop 1
	v_div_fmas_f64 v[14:15], v[14:15], v[16:17], v[20:21]
	v_cvt_f64_f32_e32 v[16:17], v5
	v_div_scale_f64 v[18:19], s[2:3], v[12:13], v[12:13], v[16:17]
	v_div_fixup_f64 v[10:11], v[14:15], v[12:13], v[10:11]
	v_cvt_f64_f32_e32 v[14:15], v8
	v_rcp_f64_e32 v[20:21], v[18:19]
	v_fma_f64 v[22:23], -v[18:19], v[20:21], 1.0
	v_fma_f64 v[20:21], v[20:21], v[22:23], v[20:21]
	v_fma_f64 v[22:23], -v[18:19], v[20:21], 1.0
	v_fma_f64 v[20:21], v[20:21], v[22:23], v[20:21]
	v_div_scale_f64 v[22:23], vcc, v[16:17], v[12:13], v[16:17]
	v_mul_f64 v[24:25], v[22:23], v[20:21]
	v_fma_f64 v[18:19], -v[18:19], v[24:25], v[22:23]
	s_nop 1
	v_div_fmas_f64 v[18:19], v[18:19], v[20:21], v[24:25]
	v_div_fixup_f64 v[12:13], v[18:19], v[12:13], v[16:17]
	v_mul_f64 v[12:13], v[12:13], v[16:17]
	v_fma_f64 v[10:11], v[10:11], v[14:15], -v[12:13]
	v_cvt_f32_f64_e32 v10, v[10:11]
.LBB1_140:                              ;   in Loop: Header=BB1_102 Depth=2
	s_cbranch_execnz .LBB1_142
.LBB1_141:                              ;   in Loop: Header=BB1_102 Depth=2
	v_sub_f32_e32 v4, v9, v6
	v_mul_f32_e32 v4, 0.5, v4
	v_cvt_f64_f32_e32 v[6:7], v7
	v_cvt_f64_f32_e32 v[9:10], v4
	v_div_scale_f64 v[11:12], s[2:3], v[9:10], v[9:10], v[6:7]
	v_rcp_f64_e32 v[13:14], v[11:12]
	v_fma_f64 v[15:16], -v[11:12], v[13:14], 1.0
	v_fma_f64 v[13:14], v[13:14], v[15:16], v[13:14]
	v_fma_f64 v[15:16], -v[11:12], v[13:14], 1.0
	v_fma_f64 v[13:14], v[13:14], v[15:16], v[13:14]
	v_div_scale_f64 v[15:16], vcc, v[6:7], v[9:10], v[6:7]
	v_mul_f64 v[17:18], v[15:16], v[13:14]
	v_fma_f64 v[11:12], -v[11:12], v[17:18], v[15:16]
	s_nop 1
	v_div_fmas_f64 v[11:12], v[11:12], v[13:14], v[17:18]
	v_cvt_f64_f32_e32 v[13:14], v5
	v_div_scale_f64 v[15:16], s[2:3], v[9:10], v[9:10], v[13:14]
	v_div_fixup_f64 v[6:7], v[11:12], v[9:10], v[6:7]
	v_cvt_f64_f32_e32 v[11:12], v8
	v_rcp_f64_e32 v[17:18], v[15:16]
	v_fma_f64 v[19:20], -v[15:16], v[17:18], 1.0
	v_fma_f64 v[17:18], v[17:18], v[19:20], v[17:18]
	v_fma_f64 v[19:20], -v[15:16], v[17:18], 1.0
	v_fma_f64 v[17:18], v[17:18], v[19:20], v[17:18]
	v_div_scale_f64 v[19:20], vcc, v[13:14], v[9:10], v[13:14]
	v_mul_f64 v[21:22], v[19:20], v[17:18]
	v_fma_f64 v[15:16], -v[15:16], v[21:22], v[19:20]
	s_nop 1
	v_div_fmas_f64 v[15:16], v[15:16], v[17:18], v[21:22]
	v_div_fixup_f64 v[8:9], v[15:16], v[9:10], v[13:14]
	v_mul_f64 v[8:9], v[8:9], v[13:14]
	v_fma_f64 v[5:6], v[6:7], v[11:12], -v[8:9]
	v_cvt_f32_f64_e32 v10, v[5:6]
.LBB1_142:                              ;   in Loop: Header=BB1_102 Depth=2
	global_store_dword v1, v4, s[34:35]
	global_store_dword v1, v10, s[38:39]
	;; [unrolled: 1-line block ×3, first 2 shown]
	s_add_i32 s30, s30, -2
	s_cbranch_execz .LBB1_101
	s_branch .LBB1_147
.LBB1_143:                              ;   in Loop: Header=BB1_102 Depth=2
	v_mov_b32_e32 v8, v10
.LBB1_144:                              ;   in Loop: Header=BB1_102 Depth=2
	v_mov_b32_e32 v9, v6
.LBB1_145:                              ;   in Loop: Header=BB1_102 Depth=2
	v_mul_f32_e32 v6, v9, v7
	v_add_f32_e32 v5, v5, v8
	s_add_i32 s31, s70, 1
	global_store_dword v1, v6, s[40:41] offset:-4
	global_store_dword v1, v5, s[34:35]
	s_mov_b64 s[40:41], -1
	s_and_b64 vcc, exec, s[38:39]
	s_cbranch_vccnz .LBB1_126
.LBB1_146:                              ;   in Loop: Header=BB1_102 Depth=2
	s_mov_b32 s70, s31
	s_and_b64 vcc, exec, s[40:41]
	s_cbranch_vccz .LBB1_101
.LBB1_147:                              ;   in Loop: Header=BB1_102 Depth=2
	s_cmp_lt_i32 s30, s25
	s_cselect_b64 s[2:3], -1, 0
	s_cmp_ge_i32 s70, s20
	s_cselect_b64 s[8:9], -1, 0
	s_or_b64 s[8:9], s[2:3], s[8:9]
	s_branch .LBB1_101
.LBB1_148:
	s_cmp_lt_i32 s33, 2
	s_cbranch_scc1 .LBB1_159
; %bb.149:
	s_load_dwordx2 s[0:1], s[4:5], 0x28
	s_lshl_b64 s[4:5], s[6:7], 2
	s_mov_b32 s2, 1
	v_mov_b32_e32 v0, 0
	s_waitcnt lgkmcnt(0)
	s_add_u32 s0, s0, s4
	s_addc_u32 s1, s1, s5
	s_branch .LBB1_151
.LBB1_150:                              ;   in Loop: Header=BB1_151 Depth=1
	s_add_i32 s2, s2, 1
	s_add_u32 s14, s14, 4
	s_addc_u32 s15, s15, 0
	s_cmp_lg_u32 s33, s2
	s_cbranch_scc0 .LBB1_153
.LBB1_151:                              ; =>This Inner Loop Header: Depth=1
	global_load_dword v1, v0, s[14:15]
	s_waitcnt vmcnt(0)
	v_cmp_eq_f32_e32 vcc, 0, v1
	s_cbranch_vccnz .LBB1_150
; %bb.152:                              ;   in Loop: Header=BB1_151 Depth=1
	global_load_dword v1, v0, s[0:1]
	s_waitcnt vmcnt(0)
	v_add_u32_e32 v1, 1, v1
	global_store_dword v0, v1, s[0:1]
	s_branch .LBB1_150
.LBB1_153:
	s_add_u32 s0, s12, s10
	s_addc_u32 s1, s13, s11
	s_add_u32 s0, s0, 4
	s_addc_u32 s1, s1, 0
	s_mov_b32 s2, 1
	v_mov_b32_e32 v0, 0
	s_branch .LBB1_155
.LBB1_154:                              ;   in Loop: Header=BB1_155 Depth=1
	s_add_i32 s2, s2, 1
	s_add_u32 s0, s0, 4
	s_addc_u32 s1, s1, 0
	s_cmp_lg_u32 s2, s33
	s_cbranch_scc0 .LBB1_159
.LBB1_155:                              ; =>This Loop Header: Depth=1
                                        ;     Child Loop BB1_156 Depth 2
	s_ashr_i32 s3, s2, 31
	s_add_i32 s7, s2, -1
	s_lshl_b64 s[4:5], s[2:3], 2
	s_add_u32 s4, s54, s4
	s_addc_u32 s5, s55, s5
	global_load_dword v1, v0, s[4:5] offset:-4
	s_mov_b64 s[8:9], s[0:1]
	s_mov_b32 s3, s2
	s_mov_b32 s6, s7
	s_waitcnt vmcnt(0)
	v_mov_b32_e32 v2, v1
.LBB1_156:                              ;   Parent Loop BB1_155 Depth=1
                                        ; =>  This Inner Loop Header: Depth=2
	global_load_dword v3, v0, s[8:9]
	s_waitcnt vmcnt(0)
	v_cmp_lt_f32_e32 vcc, v3, v2
	s_and_b64 s[10:11], vcc, exec
	s_cselect_b32 s6, s3, s6
	s_add_i32 s3, s3, 1
	s_add_u32 s8, s8, 4
	s_addc_u32 s9, s9, 0
	v_cndmask_b32_e32 v2, v2, v3, vcc
	s_cmp_eq_u32 s33, s3
	s_cbranch_scc0 .LBB1_156
; %bb.157:                              ;   in Loop: Header=BB1_155 Depth=1
	s_cmp_lg_u32 s6, s7
	s_cbranch_scc0 .LBB1_154
; %bb.158:                              ;   in Loop: Header=BB1_155 Depth=1
	s_ashr_i32 s7, s6, 31
	s_lshl_b64 s[6:7], s[6:7], 2
	s_add_u32 s6, s54, s6
	s_addc_u32 s7, s55, s7
	global_store_dword v0, v1, s[6:7]
	global_store_dword v0, v2, s[4:5] offset:-4
	s_branch .LBB1_154
.LBB1_159:
	s_endpgm
	.section	.rodata,"a",@progbits
	.p2align	6, 0x0
	.amdhsa_kernel _ZN9rocsolver6v33100L12sterf_kernelIfEEviPT_lS3_lPiS4_iS2_S2_S2_
		.amdhsa_group_segment_fixed_size 0
		.amdhsa_private_segment_fixed_size 0
		.amdhsa_kernarg_size 72
		.amdhsa_user_sgpr_count 6
		.amdhsa_user_sgpr_private_segment_buffer 1
		.amdhsa_user_sgpr_dispatch_ptr 0
		.amdhsa_user_sgpr_queue_ptr 0
		.amdhsa_user_sgpr_kernarg_segment_ptr 1
		.amdhsa_user_sgpr_dispatch_id 0
		.amdhsa_user_sgpr_flat_scratch_init 0
		.amdhsa_user_sgpr_private_segment_size 0
		.amdhsa_uses_dynamic_stack 0
		.amdhsa_system_sgpr_private_segment_wavefront_offset 0
		.amdhsa_system_sgpr_workgroup_id_x 1
		.amdhsa_system_sgpr_workgroup_id_y 0
		.amdhsa_system_sgpr_workgroup_id_z 0
		.amdhsa_system_sgpr_workgroup_info 0
		.amdhsa_system_vgpr_workitem_id 0
		.amdhsa_next_free_vgpr 26
		.amdhsa_next_free_sgpr 71
		.amdhsa_reserve_vcc 1
		.amdhsa_reserve_flat_scratch 0
		.amdhsa_float_round_mode_32 0
		.amdhsa_float_round_mode_16_64 0
		.amdhsa_float_denorm_mode_32 3
		.amdhsa_float_denorm_mode_16_64 3
		.amdhsa_dx10_clamp 1
		.amdhsa_ieee_mode 1
		.amdhsa_fp16_overflow 0
		.amdhsa_exception_fp_ieee_invalid_op 0
		.amdhsa_exception_fp_denorm_src 0
		.amdhsa_exception_fp_ieee_div_zero 0
		.amdhsa_exception_fp_ieee_overflow 0
		.amdhsa_exception_fp_ieee_underflow 0
		.amdhsa_exception_fp_ieee_inexact 0
		.amdhsa_exception_int_div_zero 0
	.end_amdhsa_kernel
	.section	.text._ZN9rocsolver6v33100L12sterf_kernelIfEEviPT_lS3_lPiS4_iS2_S2_S2_,"axG",@progbits,_ZN9rocsolver6v33100L12sterf_kernelIfEEviPT_lS3_lPiS4_iS2_S2_S2_,comdat
.Lfunc_end1:
	.size	_ZN9rocsolver6v33100L12sterf_kernelIfEEviPT_lS3_lPiS4_iS2_S2_S2_, .Lfunc_end1-_ZN9rocsolver6v33100L12sterf_kernelIfEEviPT_lS3_lPiS4_iS2_S2_S2_
                                        ; -- End function
	.set _ZN9rocsolver6v33100L12sterf_kernelIfEEviPT_lS3_lPiS4_iS2_S2_S2_.num_vgpr, 26
	.set _ZN9rocsolver6v33100L12sterf_kernelIfEEviPT_lS3_lPiS4_iS2_S2_S2_.num_agpr, 0
	.set _ZN9rocsolver6v33100L12sterf_kernelIfEEviPT_lS3_lPiS4_iS2_S2_S2_.numbered_sgpr, 71
	.set _ZN9rocsolver6v33100L12sterf_kernelIfEEviPT_lS3_lPiS4_iS2_S2_S2_.num_named_barrier, 0
	.set _ZN9rocsolver6v33100L12sterf_kernelIfEEviPT_lS3_lPiS4_iS2_S2_S2_.private_seg_size, 0
	.set _ZN9rocsolver6v33100L12sterf_kernelIfEEviPT_lS3_lPiS4_iS2_S2_S2_.uses_vcc, 1
	.set _ZN9rocsolver6v33100L12sterf_kernelIfEEviPT_lS3_lPiS4_iS2_S2_S2_.uses_flat_scratch, 0
	.set _ZN9rocsolver6v33100L12sterf_kernelIfEEviPT_lS3_lPiS4_iS2_S2_S2_.has_dyn_sized_stack, 0
	.set _ZN9rocsolver6v33100L12sterf_kernelIfEEviPT_lS3_lPiS4_iS2_S2_S2_.has_recursion, 0
	.set _ZN9rocsolver6v33100L12sterf_kernelIfEEviPT_lS3_lPiS4_iS2_S2_S2_.has_indirect_call, 0
	.section	.AMDGPU.csdata,"",@progbits
; Kernel info:
; codeLenInByte = 7652
; TotalNumSgprs: 75
; NumVgprs: 26
; ScratchSize: 0
; MemoryBound: 0
; FloatMode: 240
; IeeeMode: 1
; LDSByteSize: 0 bytes/workgroup (compile time only)
; SGPRBlocks: 9
; VGPRBlocks: 6
; NumSGPRsForWavesPerEU: 75
; NumVGPRsForWavesPerEU: 26
; Occupancy: 9
; WaveLimiterHint : 0
; COMPUTE_PGM_RSRC2:SCRATCH_EN: 0
; COMPUTE_PGM_RSRC2:USER_SGPR: 6
; COMPUTE_PGM_RSRC2:TRAP_HANDLER: 0
; COMPUTE_PGM_RSRC2:TGID_X_EN: 1
; COMPUTE_PGM_RSRC2:TGID_Y_EN: 0
; COMPUTE_PGM_RSRC2:TGID_Z_EN: 0
; COMPUTE_PGM_RSRC2:TIDIG_COMP_CNT: 0
	.section	.text._ZN9rocsolver6v33100L12sterf_kernelIdEEviPT_lS3_lPiS4_iS2_S2_S2_,"axG",@progbits,_ZN9rocsolver6v33100L12sterf_kernelIdEEviPT_lS3_lPiS4_iS2_S2_S2_,comdat
	.globl	_ZN9rocsolver6v33100L12sterf_kernelIdEEviPT_lS3_lPiS4_iS2_S2_S2_ ; -- Begin function _ZN9rocsolver6v33100L12sterf_kernelIdEEviPT_lS3_lPiS4_iS2_S2_S2_
	.p2align	8
	.type	_ZN9rocsolver6v33100L12sterf_kernelIdEEviPT_lS3_lPiS4_iS2_S2_S2_,@function
_ZN9rocsolver6v33100L12sterf_kernelIdEEviPT_lS3_lPiS4_iS2_S2_S2_: ; @_ZN9rocsolver6v33100L12sterf_kernelIdEEviPT_lS3_lPiS4_iS2_S2_S2_
; %bb.0:
	s_load_dwordx8 s[12:19], s[4:5], 0x8
	s_load_dword s33, s[4:5], 0x0
	s_load_dword s60, s[4:5], 0x38
	s_ashr_i32 s7, s6, 31
	s_waitcnt lgkmcnt(0)
	s_mul_hi_u32 s0, s14, s6
	s_mul_i32 s1, s14, s7
	s_add_i32 s0, s0, s1
	s_mul_i32 s1, s15, s6
	s_add_i32 s1, s0, s1
	s_mul_i32 s0, s14, s6
	s_lshl_b64 s[10:11], s[0:1], 3
	s_add_u32 s58, s12, s10
	s_mul_hi_u32 s0, s18, s6
	s_mul_i32 s1, s18, s7
	s_addc_u32 s59, s13, s11
	s_add_i32 s0, s0, s1
	s_mul_i32 s1, s19, s6
	s_add_i32 s1, s0, s1
	s_mul_i32 s0, s18, s6
	s_lshl_b64 s[0:1], s[0:1], 3
	s_add_u32 s14, s16, s0
	s_addc_u32 s15, s17, s1
	s_min_i32 s2, s33, s60
	s_cmp_lt_i32 s2, 1
	s_cbranch_scc1 .LBB2_148
; %bb.1:
	s_load_dwordx4 s[20:23], s[4:5], 0x40
	s_load_dwordx2 s[18:19], s[4:5], 0x50
	s_add_i32 s61, s33, -1
	s_add_u32 s62, s16, s0
	s_addc_u32 s63, s17, s1
	s_waitcnt lgkmcnt(0)
	v_mul_f64 v[0:1], s[20:21], s[20:21]
	s_add_u32 s64, s62, -8
	s_addc_u32 s65, s63, -1
	s_add_u32 s66, s12, s10
	s_addc_u32 s67, s13, s11
	s_add_u32 s68, s66, 8
	s_addc_u32 s69, s67, 0
	s_add_u32 s70, s62, 8
	s_mov_b32 s16, 0
	s_mov_b32 s24, 0x667f3bcd
	s_addc_u32 s71, s63, 0
	s_mov_b32 s72, 0
	v_mov_b32_e32 v2, 0
	s_brev_b32 s17, 8
	v_mov_b32_e32 v24, 0x260
	s_mov_b32 s25, 0x3ff6a09e
	s_mov_b32 s27, 0
	;; [unrolled: 1-line block ×3, first 2 shown]
	s_branch .LBB2_3
.LBB2_2:                                ;   in Loop: Header=BB2_3 Depth=1
	s_andn2_b64 vcc, exec, s[8:9]
	s_cbranch_vccz .LBB2_20
.LBB2_3:                                ; =>This Loop Header: Depth=1
                                        ;     Child Loop BB2_7 Depth 2
                                        ;     Child Loop BB2_14 Depth 2
	;; [unrolled: 1-line block ×6, first 2 shown]
                                        ;       Child Loop BB2_56 Depth 3
                                        ;       Child Loop BB2_68 Depth 3
                                        ;     Child Loop BB2_102 Depth 2
                                        ;       Child Loop BB2_104 Depth 3
                                        ;       Child Loop BB2_117 Depth 3
                                        ;     Child Loop BB2_46 Depth 2
                                        ;     Child Loop BB2_50 Depth 2
	s_mov_b32 s26, s27
	s_cmp_lt_i32 s27, 1
	s_cbranch_scc1 .LBB2_5
; %bb.4:                                ;   in Loop: Header=BB2_3 Depth=1
	s_mov_b32 s27, s72
	s_lshl_b64 s[0:1], s[26:27], 3
	s_add_u32 s0, s14, s0
	s_addc_u32 s1, s15, s1
	v_mov_b32_e32 v3, v2
	global_store_dwordx2 v2, v[2:3], s[0:1] offset:-8
.LBB2_5:                                ;   in Loop: Header=BB2_3 Depth=1
	s_ashr_i32 s27, s26, 31
	s_lshl_b64 s[30:31], s[26:27], 3
	s_add_u32 s0, s64, s30
	s_addc_u32 s1, s65, s31
	s_add_u32 s2, s68, s30
	s_addc_u32 s3, s69, s31
	s_mov_b32 s28, s26
	s_mov_b64 s[8:9], -1
	s_cmp_ge_i32 s28, s61
	s_mov_b64 s[34:35], -1
                                        ; implicit-def: $sgpr27
	s_cbranch_scc1 .LBB2_7
.LBB2_6:                                ;   in Loop: Header=BB2_3 Depth=1
	global_load_dwordx4 v[3:6], v2, s[2:3] offset:-8
	global_load_dwordx2 v[7:8], v2, s[0:1] offset:8
	s_add_u32 s36, s0, 8
	s_addc_u32 s37, s1, 0
	s_waitcnt vmcnt(1)
	v_cmp_lt_f64_e64 s[8:9], |v[3:4]|, s[16:17]
	v_cmp_lt_f64_e64 s[34:35], |v[5:6]|, s[16:17]
	s_and_b64 s[0:1], s[8:9], exec
	s_cselect_b32 s0, 0x100, 0
	s_cselect_b32 s8, 0xffffff80, 0
	s_add_i32 s27, s28, 1
	v_ldexp_f64 v[3:4], |v[3:4]|, s0
	s_and_b64 s[0:1], s[34:35], exec
	s_cselect_b32 s0, 0x100, 0
	v_ldexp_f64 v[5:6], |v[5:6]|, s0
	s_cselect_b32 s0, 0xffffff80, 0
	s_add_u32 s2, s2, 8
	s_addc_u32 s3, s3, 0
	v_rsq_f64_e32 v[9:10], v[3:4]
	v_cmp_class_f64_e32 vcc, v[3:4], v24
	v_rsq_f64_e32 v[11:12], v[5:6]
	v_mul_f64 v[13:14], v[3:4], v[9:10]
	v_mul_f64 v[9:10], v[9:10], 0.5
	v_mul_f64 v[15:16], v[5:6], v[11:12]
	v_mul_f64 v[11:12], v[11:12], 0.5
	v_fma_f64 v[17:18], -v[9:10], v[13:14], 0.5
	v_fma_f64 v[19:20], -v[11:12], v[15:16], 0.5
	v_fma_f64 v[13:14], v[13:14], v[17:18], v[13:14]
	v_fma_f64 v[9:10], v[9:10], v[17:18], v[9:10]
	;; [unrolled: 1-line block ×4, first 2 shown]
	v_fma_f64 v[17:18], -v[13:14], v[13:14], v[3:4]
	v_fma_f64 v[19:20], -v[15:16], v[15:16], v[5:6]
	v_fma_f64 v[13:14], v[17:18], v[9:10], v[13:14]
	v_fma_f64 v[15:16], v[19:20], v[11:12], v[15:16]
	v_fma_f64 v[17:18], -v[13:14], v[13:14], v[3:4]
	v_fma_f64 v[19:20], -v[15:16], v[15:16], v[5:6]
	v_fma_f64 v[9:10], v[17:18], v[9:10], v[13:14]
	v_fma_f64 v[11:12], v[19:20], v[11:12], v[15:16]
	v_ldexp_f64 v[9:10], v[9:10], s8
	s_mov_b64 s[8:9], 0
	v_ldexp_f64 v[11:12], v[11:12], s0
	v_cmp_class_f64_e64 s[0:1], v[5:6], v24
	v_cndmask_b32_e32 v4, v10, v4, vcc
	v_cndmask_b32_e32 v3, v9, v3, vcc
	v_cndmask_b32_e64 v6, v12, v6, s[0:1]
	v_cndmask_b32_e64 v5, v11, v5, s[0:1]
	v_mul_f64 v[3:4], v[3:4], v[5:6]
	s_mov_b64 s[0:1], s[36:37]
	v_mul_f64 v[3:4], s[20:21], v[3:4]
	s_waitcnt vmcnt(0)
	v_cmp_le_f64_e64 s[34:35], |v[7:8]|, v[3:4]
.LBB2_7:                                ;   Parent Loop BB2_3 Depth=1
                                        ; =>  This Inner Loop Header: Depth=2
	s_andn2_b64 vcc, exec, s[34:35]
	s_cbranch_vccz .LBB2_9
; %bb.8:                                ;   in Loop: Header=BB2_7 Depth=2
	s_mov_b32 s28, s27
	s_mov_b64 s[8:9], -1
	s_cmp_ge_i32 s28, s61
	s_mov_b64 s[34:35], -1
                                        ; implicit-def: $sgpr27
	s_cbranch_scc0 .LBB2_6
	s_branch .LBB2_7
.LBB2_9:                                ;   in Loop: Header=BB2_3 Depth=1
	s_andn2_b64 vcc, exec, s[8:9]
	s_mov_b64 s[2:3], -1
	s_cbranch_vccnz .LBB2_16
; %bb.10:                               ;   in Loop: Header=BB2_3 Depth=1
	s_andn2_b64 vcc, exec, s[2:3]
	s_cbranch_vccz .LBB2_17
.LBB2_11:                               ;   in Loop: Header=BB2_3 Depth=1
	s_cmp_lg_u32 s28, s26
	s_mov_b64 s[2:3], -1
	s_cbranch_scc0 .LBB2_18
.LBB2_12:                               ;   in Loop: Header=BB2_3 Depth=1
	s_ashr_i32 s29, s28, 31
	s_lshl_b64 s[0:1], s[28:29], 3
	s_add_u32 s34, s58, s0
	s_addc_u32 s35, s59, s1
	global_load_dwordx2 v[6:7], v2, s[34:35]
	s_cmp_lt_i32 s26, s28
	s_cselect_b64 s[0:1], -1, 0
	s_cmp_ge_i32 s26, s28
	s_waitcnt vmcnt(0)
	v_and_b32_e32 v5, 0x7fffffff, v7
	v_mov_b32_e32 v4, v6
	s_cbranch_scc1 .LBB2_15
; %bb.13:                               ;   in Loop: Header=BB2_3 Depth=1
	s_add_u32 s8, s66, s30
	s_addc_u32 s9, s67, s31
	s_add_u32 s36, s62, s30
	s_addc_u32 s37, s63, s31
	s_mov_b32 s29, s26
.LBB2_14:                               ;   Parent Loop BB2_3 Depth=1
                                        ; =>  This Inner Loop Header: Depth=2
	global_load_dwordx2 v[8:9], v2, s[36:37]
	global_load_dwordx2 v[10:11], v2, s[8:9]
	v_max_f64 v[3:4], v[4:5], v[4:5]
	s_add_i32 s29, s29, 1
	s_add_u32 s8, s8, 8
	s_addc_u32 s9, s9, 0
	s_add_u32 s36, s36, 8
	s_addc_u32 s37, s37, 0
	s_cmp_lt_i32 s29, s28
	s_waitcnt vmcnt(1)
	v_max_f64 v[8:9], |v[8:9]|, |v[8:9]|
	s_waitcnt vmcnt(0)
	v_max_f64 v[10:11], |v[10:11]|, |v[10:11]|
	v_max_f64 v[8:9], v[10:11], v[8:9]
	v_max_f64 v[4:5], v[3:4], v[8:9]
	s_cbranch_scc1 .LBB2_14
.LBB2_15:                               ;   in Loop: Header=BB2_3 Depth=1
	v_cmp_eq_f64_e64 s[8:9], 0, v[4:5]
	s_and_b64 vcc, exec, s[8:9]
	s_mov_b64 s[8:9], -1
	s_cbranch_vccz .LBB2_2
	s_branch .LBB2_19
.LBB2_16:                               ;   in Loop: Header=BB2_3 Depth=1
	v_mov_b32_e32 v3, v2
	global_store_dwordx2 v2, v[2:3], s[0:1]
	s_cbranch_execnz .LBB2_11
.LBB2_17:                               ;   in Loop: Header=BB2_3 Depth=1
	s_max_i32 s28, s26, s61
	s_add_i32 s27, s28, 1
	s_cmp_lg_u32 s28, s26
	s_mov_b64 s[2:3], -1
	s_cbranch_scc1 .LBB2_12
.LBB2_18:                               ;   in Loop: Header=BB2_3 Depth=1
                                        ; implicit-def: $sgpr34_sgpr35
                                        ; implicit-def: $vgpr6_vgpr7
                                        ; implicit-def: $sgpr0_sgpr1
                                        ; implicit-def: $vgpr4_vgpr5
	s_mov_b64 s[8:9], -1
	s_cbranch_execz .LBB2_2
.LBB2_19:                               ;   in Loop: Header=BB2_3 Depth=1
	s_cmp_ge_i32 s27, s33
	s_mov_b64 s[2:3], 0
	s_cselect_b64 s[8:9], -1, 0
	s_branch .LBB2_2
.LBB2_20:                               ;   in Loop: Header=BB2_3 Depth=1
	s_mov_b64 s[8:9], -1
	s_and_b64 vcc, exec, s[2:3]
                                        ; implicit-def: $sgpr37
	s_cbranch_vccz .LBB2_52
; %bb.21:                               ;   in Loop: Header=BB2_3 Depth=1
	v_cmp_nlt_f64_e32 vcc, s[18:19], v[4:5]
	s_cbranch_vccz .LBB2_27
; %bb.22:                               ;   in Loop: Header=BB2_3 Depth=1
	v_cmp_gt_f64_e32 vcc, s[22:23], v[4:5]
	s_mov_b64 s[2:3], -1
	s_cbranch_vccz .LBB2_28
; %bb.23:                               ;   in Loop: Header=BB2_3 Depth=1
	v_div_scale_f64 v[8:9], s[2:3], s[22:23], s[22:23], v[4:5]
	s_mov_b64 s[2:3], 0
	v_rcp_f64_e32 v[10:11], v[8:9]
	v_fma_f64 v[12:13], -v[8:9], v[10:11], 1.0
	v_fma_f64 v[10:11], v[10:11], v[12:13], v[10:11]
	v_div_scale_f64 v[12:13], vcc, v[4:5], s[22:23], v[4:5]
	v_fma_f64 v[14:15], -v[8:9], v[10:11], 1.0
	v_fma_f64 v[10:11], v[10:11], v[14:15], v[10:11]
	v_mul_f64 v[14:15], v[12:13], v[10:11]
	v_fma_f64 v[8:9], -v[8:9], v[14:15], v[12:13]
	v_div_fmas_f64 v[8:9], v[8:9], v[10:11], v[14:15]
	s_and_b64 vcc, exec, s[0:1]
	v_div_fixup_f64 v[8:9], v[8:9], s[22:23], v[4:5]
	s_waitcnt vmcnt(0)
	v_mul_f64 v[10:11], v[6:7], v[8:9]
	global_store_dwordx2 v2, v[10:11], s[34:35]
	s_cbranch_vccz .LBB2_28
; %bb.24:                               ;   in Loop: Header=BB2_3 Depth=1
	s_add_u32 s2, s66, s30
	s_addc_u32 s3, s67, s31
	s_add_u32 s8, s62, s30
	s_addc_u32 s9, s63, s31
	s_mov_b32 s29, s26
.LBB2_25:                               ;   Parent Loop BB2_3 Depth=1
                                        ; =>  This Inner Loop Header: Depth=2
	global_load_dwordx2 v[10:11], v2, s[2:3]
	s_add_i32 s29, s29, 1
	s_waitcnt vmcnt(0)
	v_mul_f64 v[10:11], v[8:9], v[10:11]
	global_store_dwordx2 v2, v[10:11], s[2:3]
	global_load_dwordx2 v[10:11], v2, s[8:9]
	s_add_u32 s2, s2, 8
	s_addc_u32 s3, s3, 0
	s_waitcnt vmcnt(0)
	v_mul_f64 v[10:11], v[8:9], v[10:11]
	global_store_dwordx2 v2, v[10:11], s[8:9]
	s_add_u32 s8, s8, 8
	s_addc_u32 s9, s9, 0
	s_cmp_lt_i32 s29, s28
	s_cbranch_scc1 .LBB2_25
; %bb.26:                               ;   in Loop: Header=BB2_3 Depth=1
	s_mov_b64 s[2:3], -1
	s_branch .LBB2_33
.LBB2_27:                               ;   in Loop: Header=BB2_3 Depth=1
	s_mov_b64 s[2:3], 0
	s_and_b64 vcc, exec, s[8:9]
	s_cbranch_vccnz .LBB2_29
	s_branch .LBB2_33
.LBB2_28:                               ;   in Loop: Header=BB2_3 Depth=1
	s_branch .LBB2_33
.LBB2_29:                               ;   in Loop: Header=BB2_3 Depth=1
	v_div_scale_f64 v[8:9], s[8:9], s[18:19], s[18:19], v[4:5]
	v_rcp_f64_e32 v[10:11], v[8:9]
	v_fma_f64 v[12:13], -v[8:9], v[10:11], 1.0
	v_fma_f64 v[10:11], v[10:11], v[12:13], v[10:11]
	v_div_scale_f64 v[12:13], vcc, v[4:5], s[18:19], v[4:5]
	v_fma_f64 v[14:15], -v[8:9], v[10:11], 1.0
	v_fma_f64 v[10:11], v[10:11], v[14:15], v[10:11]
	v_mul_f64 v[14:15], v[12:13], v[10:11]
	v_fma_f64 v[8:9], -v[8:9], v[14:15], v[12:13]
	v_div_fmas_f64 v[8:9], v[8:9], v[10:11], v[14:15]
	s_and_b64 vcc, exec, s[0:1]
	v_div_fixup_f64 v[8:9], v[8:9], s[18:19], v[4:5]
	s_waitcnt vmcnt(0)
	v_mul_f64 v[6:7], v[6:7], v[8:9]
	global_store_dwordx2 v2, v[6:7], s[34:35]
	s_cbranch_vccz .LBB2_33
; %bb.30:                               ;   in Loop: Header=BB2_3 Depth=1
	s_add_u32 s2, s66, s30
	s_addc_u32 s3, s67, s31
	s_add_u32 s8, s62, s30
	s_addc_u32 s9, s63, s31
	s_mov_b32 s29, s26
.LBB2_31:                               ;   Parent Loop BB2_3 Depth=1
                                        ; =>  This Inner Loop Header: Depth=2
	global_load_dwordx2 v[6:7], v2, s[2:3]
	s_add_i32 s29, s29, 1
	s_waitcnt vmcnt(0)
	v_mul_f64 v[6:7], v[8:9], v[6:7]
	global_store_dwordx2 v2, v[6:7], s[2:3]
	global_load_dwordx2 v[6:7], v2, s[8:9]
	s_add_u32 s2, s2, 8
	s_addc_u32 s3, s3, 0
	s_waitcnt vmcnt(0)
	v_mul_f64 v[6:7], v[8:9], v[6:7]
	global_store_dwordx2 v2, v[6:7], s[8:9]
	s_add_u32 s8, s8, 8
	s_addc_u32 s9, s9, 0
	s_cmp_ge_i32 s29, s28
	s_cbranch_scc0 .LBB2_31
; %bb.32:                               ;   in Loop: Header=BB2_3 Depth=1
	s_mov_b64 s[2:3], -1
.LBB2_33:                               ;   in Loop: Header=BB2_3 Depth=1
	v_cndmask_b32_e64 v3, 0, 1, s[0:1]
	s_and_b64 vcc, exec, s[2:3]
	v_cmp_ne_u32_e64 s[0:1], 1, v3
	s_cbranch_vccz .LBB2_37
; %bb.34:                               ;   in Loop: Header=BB2_3 Depth=1
	s_and_b64 vcc, exec, s[0:1]
	s_cbranch_vccnz .LBB2_37
; %bb.35:                               ;   in Loop: Header=BB2_3 Depth=1
	s_add_u32 s2, s62, s30
	s_addc_u32 s3, s63, s31
	s_mov_b32 s8, s26
.LBB2_36:                               ;   Parent Loop BB2_3 Depth=1
                                        ; =>  This Inner Loop Header: Depth=2
	global_load_dwordx2 v[6:7], v2, s[2:3]
	s_add_i32 s8, s8, 1
	s_waitcnt vmcnt(0)
	v_mul_f64 v[6:7], v[6:7], v[6:7]
	global_store_dwordx2 v2, v[6:7], s[2:3]
	s_add_u32 s2, s2, 8
	s_addc_u32 s3, s3, 0
	s_cmp_lt_i32 s8, s28
	s_cbranch_scc1 .LBB2_36
.LBB2_37:                               ;   in Loop: Header=BB2_3 Depth=1
	s_add_u32 s2, s58, s30
	s_addc_u32 s3, s59, s31
	global_load_dwordx2 v[6:7], v2, s[34:35]
	global_load_dwordx2 v[8:9], v2, s[2:3]
	s_mov_b64 s[8:9], -1
                                        ; implicit-def: $sgpr37
	s_waitcnt vmcnt(0)
	v_cmp_lt_f64_e64 s[2:3], |v[6:7]|, |v[8:9]|
	s_and_b64 s[2:3], s[2:3], exec
	s_cselect_b32 s29, s26, s28
	s_cselect_b32 s36, s28, s26
	s_cmp_lt_i32 s73, s60
	s_cselect_b64 s[2:3], -1, 0
	v_cndmask_b32_e64 v3, 0, 1, s[2:3]
	s_cmp_lt_i32 s29, s36
	v_cmp_ne_u32_e64 s[2:3], 1, v3
	s_cbranch_scc0 .LBB2_40
; %bb.38:                               ;   in Loop: Header=BB2_3 Depth=1
	s_andn2_b64 vcc, exec, s[8:9]
	s_cbranch_vccz .LBB2_42
.LBB2_39:                               ;   in Loop: Header=BB2_3 Depth=1
	v_cmp_lt_f64_e32 vcc, s[18:19], v[4:5]
	s_andn2_b64 vcc, exec, vcc
	s_cbranch_vccz .LBB2_44
	s_branch .LBB2_47
.LBB2_40:                               ;   in Loop: Header=BB2_3 Depth=1
	s_and_b64 vcc, exec, s[2:3]
	s_mov_b32 s37, s73
	s_mov_b32 s38, s36
	s_cbranch_vccz .LBB2_54
.LBB2_41:                               ;   in Loop: Header=BB2_3 Depth=1
	s_cbranch_execnz .LBB2_39
.LBB2_42:                               ;   in Loop: Header=BB2_3 Depth=1
	s_and_b64 vcc, exec, s[2:3]
	s_cbranch_vccz .LBB2_102
.LBB2_43:                               ;   in Loop: Header=BB2_3 Depth=1
	s_mov_b32 s37, s73
	v_cmp_lt_f64_e32 vcc, s[18:19], v[4:5]
	s_andn2_b64 vcc, exec, vcc
	s_cbranch_vccnz .LBB2_47
.LBB2_44:                               ;   in Loop: Header=BB2_3 Depth=1
	s_waitcnt vmcnt(0)
	v_div_scale_f64 v[6:7], s[2:3], v[4:5], v[4:5], s[18:19]
	global_load_dwordx2 v[10:11], v2, s[34:35]
	v_div_scale_f64 v[14:15], vcc, s[18:19], v[4:5], s[18:19]
	v_rcp_f64_e32 v[8:9], v[6:7]
	v_fma_f64 v[12:13], -v[6:7], v[8:9], 1.0
	v_fma_f64 v[8:9], v[8:9], v[12:13], v[8:9]
	v_fma_f64 v[12:13], -v[6:7], v[8:9], 1.0
	v_fma_f64 v[8:9], v[8:9], v[12:13], v[8:9]
	v_mul_f64 v[12:13], v[14:15], v[8:9]
	v_fma_f64 v[6:7], -v[6:7], v[12:13], v[14:15]
	v_div_fmas_f64 v[6:7], v[6:7], v[8:9], v[12:13]
	s_and_b64 vcc, exec, s[0:1]
	v_div_fixup_f64 v[6:7], v[6:7], v[4:5], s[18:19]
	s_waitcnt vmcnt(0)
	v_mul_f64 v[8:9], v[6:7], v[10:11]
	global_store_dwordx2 v2, v[8:9], s[34:35]
	s_cbranch_vccnz .LBB2_47
; %bb.45:                               ;   in Loop: Header=BB2_3 Depth=1
	s_add_u32 s2, s66, s30
	s_addc_u32 s3, s67, s31
	s_add_u32 s8, s62, s30
	s_addc_u32 s9, s63, s31
	s_mov_b32 s29, s26
.LBB2_46:                               ;   Parent Loop BB2_3 Depth=1
                                        ; =>  This Inner Loop Header: Depth=2
	global_load_dwordx2 v[8:9], v2, s[2:3]
	s_add_i32 s29, s29, 1
	s_waitcnt vmcnt(0)
	v_mul_f64 v[8:9], v[6:7], v[8:9]
	global_store_dwordx2 v2, v[8:9], s[2:3]
	global_load_dwordx2 v[8:9], v2, s[8:9]
	s_add_u32 s2, s2, 8
	s_addc_u32 s3, s3, 0
	s_waitcnt vmcnt(0)
	v_mul_f64 v[8:9], v[6:7], v[8:9]
	global_store_dwordx2 v2, v[8:9], s[8:9]
	s_add_u32 s8, s8, 8
	s_addc_u32 s9, s9, 0
	s_cmp_lt_i32 s29, s28
	s_cbranch_scc1 .LBB2_46
.LBB2_47:                               ;   in Loop: Header=BB2_3 Depth=1
	v_cmp_ngt_f64_e32 vcc, s[22:23], v[4:5]
	s_cbranch_vccnz .LBB2_51
; %bb.48:                               ;   in Loop: Header=BB2_3 Depth=1
	s_waitcnt vmcnt(0)
	v_div_scale_f64 v[6:7], s[2:3], v[4:5], v[4:5], s[22:23]
	global_load_dwordx2 v[10:11], v2, s[34:35]
	v_div_scale_f64 v[14:15], vcc, s[22:23], v[4:5], s[22:23]
	v_rcp_f64_e32 v[8:9], v[6:7]
	v_fma_f64 v[12:13], -v[6:7], v[8:9], 1.0
	v_fma_f64 v[8:9], v[8:9], v[12:13], v[8:9]
	v_fma_f64 v[12:13], -v[6:7], v[8:9], 1.0
	v_fma_f64 v[8:9], v[8:9], v[12:13], v[8:9]
	v_mul_f64 v[12:13], v[14:15], v[8:9]
	v_fma_f64 v[6:7], -v[6:7], v[12:13], v[14:15]
	v_div_fmas_f64 v[6:7], v[6:7], v[8:9], v[12:13]
	s_and_b64 vcc, exec, s[0:1]
	v_div_fixup_f64 v[3:4], v[6:7], v[4:5], s[22:23]
	s_waitcnt vmcnt(0)
	v_mul_f64 v[5:6], v[3:4], v[10:11]
	global_store_dwordx2 v2, v[5:6], s[34:35]
	s_cbranch_vccnz .LBB2_51
; %bb.49:                               ;   in Loop: Header=BB2_3 Depth=1
	s_add_u32 s0, s66, s30
	s_addc_u32 s1, s67, s31
	s_add_u32 s2, s62, s30
	s_addc_u32 s3, s63, s31
.LBB2_50:                               ;   Parent Loop BB2_3 Depth=1
                                        ; =>  This Inner Loop Header: Depth=2
	global_load_dwordx2 v[5:6], v2, s[0:1]
	s_add_i32 s26, s26, 1
	s_waitcnt vmcnt(0)
	v_mul_f64 v[5:6], v[3:4], v[5:6]
	global_store_dwordx2 v2, v[5:6], s[0:1]
	global_load_dwordx2 v[5:6], v2, s[2:3]
	s_add_u32 s0, s0, 8
	s_addc_u32 s1, s1, 0
	s_waitcnt vmcnt(0)
	v_mul_f64 v[5:6], v[3:4], v[5:6]
	global_store_dwordx2 v2, v[5:6], s[2:3]
	s_add_u32 s2, s2, 8
	s_addc_u32 s3, s3, 0
	s_cmp_lt_i32 s26, s28
	s_cbranch_scc1 .LBB2_50
.LBB2_51:                               ;   in Loop: Header=BB2_3 Depth=1
	s_cmp_ge_i32 s37, s60
	s_cselect_b64 s[0:1], -1, 0
	s_cmp_ge_i32 s27, s33
	s_cselect_b64 s[2:3], -1, 0
	s_or_b64 s[8:9], s[2:3], s[0:1]
.LBB2_52:                               ;   in Loop: Header=BB2_3 Depth=1
	s_and_b64 vcc, exec, s[8:9]
	s_mov_b32 s73, s37
	s_cbranch_vccz .LBB2_3
	s_branch .LBB2_148
.LBB2_53:                               ;   in Loop: Header=BB2_54 Depth=2
	s_andn2_b64 vcc, exec, s[40:41]
	s_cbranch_vccz .LBB2_41
.LBB2_54:                               ;   Parent Loop BB2_3 Depth=1
                                        ; =>  This Loop Header: Depth=2
                                        ;       Child Loop BB2_56 Depth 3
                                        ;       Child Loop BB2_68 Depth 3
	s_ashr_i32 s39, s38, 31
	s_max_i32 s8, s29, s38
	s_lshl_b64 s[44:45], s[38:39], 3
	s_add_u32 s40, s64, s44
	s_addc_u32 s41, s65, s45
	s_add_u32 s42, s68, s44
	s_addc_u32 s43, s69, s45
	s_mov_b32 s9, s38
	s_mov_b64 s[46:47], -1
	s_cmp_ge_i32 s9, s29
	s_mov_b64 s[48:49], -1
                                        ; implicit-def: $sgpr39
	s_cbranch_scc1 .LBB2_56
.LBB2_55:                               ;   in Loop: Header=BB2_54 Depth=2
	global_load_dwordx4 v[6:9], v2, s[42:43] offset:-8
	global_load_dwordx2 v[10:11], v2, s[40:41] offset:8
	s_add_u32 s40, s40, 8
	s_addc_u32 s41, s41, 0
	s_add_i32 s39, s9, 1
	s_add_u32 s42, s42, 8
	s_addc_u32 s43, s43, 0
	s_mov_b64 s[46:47], 0
	s_waitcnt vmcnt(1)
	v_mul_f64 v[6:7], v[6:7], v[8:9]
	v_mul_f64 v[6:7], v[0:1], |v[6:7]|
	s_waitcnt vmcnt(0)
	v_cmp_le_f64_e64 s[48:49], |v[10:11]|, v[6:7]
.LBB2_56:                               ;   Parent Loop BB2_3 Depth=1
                                        ;     Parent Loop BB2_54 Depth=2
                                        ; =>    This Inner Loop Header: Depth=3
	s_andn2_b64 vcc, exec, s[48:49]
	s_cbranch_vccz .LBB2_58
; %bb.57:                               ;   in Loop: Header=BB2_56 Depth=3
	s_mov_b32 s9, s39
	s_mov_b64 s[46:47], -1
	s_cmp_ge_i32 s9, s29
	s_mov_b64 s[48:49], -1
                                        ; implicit-def: $sgpr39
	s_cbranch_scc0 .LBB2_55
	s_branch .LBB2_56
.LBB2_58:                               ;   in Loop: Header=BB2_54 Depth=2
	s_andn2_b64 vcc, exec, s[46:47]
	s_cbranch_vccz .LBB2_60
; %bb.59:                               ;   in Loop: Header=BB2_54 Depth=2
	v_mov_b32_e32 v3, v2
	s_mov_b32 s8, s9
	global_store_dwordx2 v2, v[2:3], s[40:41]
.LBB2_60:                               ;   in Loop: Header=BB2_54 Depth=2
	s_add_i32 s9, s38, 1
	s_cmp_eq_u32 s8, s38
	s_mov_b64 s[40:41], -1
	s_cbranch_scc1 .LBB2_76
; %bb.61:                               ;   in Loop: Header=BB2_54 Depth=2
	s_add_u32 s42, s58, s44
	s_addc_u32 s43, s59, s45
	global_load_dwordx2 v[6:7], v2, s[42:43]
	s_cmp_lg_u32 s8, s9
	s_cbranch_scc0 .LBB2_77
; %bb.62:                               ;   in Loop: Header=BB2_54 Depth=2
	s_mov_b64 s[46:47], 0
	s_cmp_lg_u32 s37, s60
	s_mov_b32 s9, s60
	s_mov_b64 s[48:49], 0
	s_cbranch_scc0 .LBB2_78
; %bb.63:                               ;   in Loop: Header=BB2_54 Depth=2
	s_add_u32 s48, s14, s44
	s_addc_u32 s49, s15, s45
	global_load_dwordx2 v[8:9], v2, s[48:49]
	global_load_dwordx2 v[10:11], v2, s[42:43] offset:8
	s_waitcnt vmcnt(1)
	v_cmp_gt_f64_e32 vcc, s[16:17], v[8:9]
	s_waitcnt vmcnt(0)
	v_add_f64 v[10:11], v[10:11], -v[6:7]
	s_and_b64 s[50:51], vcc, exec
	s_cselect_b32 s9, 0x100, 0
	v_ldexp_f64 v[8:9], v[8:9], s9
	s_cselect_b32 s9, 0xffffff80, 0
	v_rsq_f64_e32 v[12:13], v[8:9]
	v_cmp_class_f64_e32 vcc, v[8:9], v24
	v_mul_f64 v[14:15], v[8:9], v[12:13]
	v_mul_f64 v[12:13], v[12:13], 0.5
	v_fma_f64 v[16:17], -v[12:13], v[14:15], 0.5
	v_fma_f64 v[14:15], v[14:15], v[16:17], v[14:15]
	v_fma_f64 v[12:13], v[12:13], v[16:17], v[12:13]
	v_fma_f64 v[16:17], -v[14:15], v[14:15], v[8:9]
	v_fma_f64 v[14:15], v[16:17], v[12:13], v[14:15]
	v_fma_f64 v[16:17], -v[14:15], v[14:15], v[8:9]
	v_fma_f64 v[12:13], v[16:17], v[12:13], v[14:15]
	v_ldexp_f64 v[12:13], v[12:13], s9
	v_cndmask_b32_e32 v9, v13, v9, vcc
	v_cndmask_b32_e32 v8, v12, v8, vcc
	v_add_f64 v[12:13], v[8:9], v[8:9]
	v_div_scale_f64 v[14:15], s[50:51], v[12:13], v[12:13], v[10:11]
	v_rcp_f64_e32 v[16:17], v[14:15]
	v_fma_f64 v[18:19], -v[14:15], v[16:17], 1.0
	v_fma_f64 v[16:17], v[16:17], v[18:19], v[16:17]
	v_div_scale_f64 v[18:19], vcc, v[10:11], v[12:13], v[10:11]
	v_fma_f64 v[20:21], -v[14:15], v[16:17], 1.0
	v_fma_f64 v[16:17], v[16:17], v[20:21], v[16:17]
	v_mul_f64 v[20:21], v[18:19], v[16:17]
	v_fma_f64 v[14:15], -v[14:15], v[20:21], v[18:19]
	v_div_fmas_f64 v[14:15], v[14:15], v[16:17], v[20:21]
	v_div_fixup_f64 v[10:11], v[14:15], v[12:13], v[10:11]
	v_fma_f64 v[12:13], v[10:11], v[10:11], 1.0
	v_cmp_gt_f64_e32 vcc, s[16:17], v[12:13]
	s_and_b64 s[50:51], vcc, exec
	s_cselect_b32 s9, 0x100, 0
	v_ldexp_f64 v[12:13], v[12:13], s9
	s_cselect_b32 s9, 0xffffff80, 0
	v_rsq_f64_e32 v[14:15], v[12:13]
	v_cmp_class_f64_e32 vcc, v[12:13], v24
	v_mul_f64 v[16:17], v[12:13], v[14:15]
	v_mul_f64 v[14:15], v[14:15], 0.5
	v_fma_f64 v[18:19], -v[14:15], v[16:17], 0.5
	v_fma_f64 v[16:17], v[16:17], v[18:19], v[16:17]
	v_fma_f64 v[14:15], v[14:15], v[18:19], v[14:15]
	v_fma_f64 v[18:19], -v[16:17], v[16:17], v[12:13]
	v_fma_f64 v[16:17], v[18:19], v[14:15], v[16:17]
	v_fma_f64 v[18:19], -v[16:17], v[16:17], v[12:13]
	v_fma_f64 v[14:15], v[18:19], v[14:15], v[16:17]
	v_ldexp_f64 v[14:15], v[14:15], s9
	s_ashr_i32 s9, s8, 31
	s_lshl_b64 s[52:53], s[8:9], 3
	v_cndmask_b32_e32 v3, v15, v13, vcc
	v_cndmask_b32_e32 v12, v14, v12, vcc
	v_cmp_nle_f64_e32 vcc, 0, v[10:11]
	v_and_b32_e32 v13, 0x7fffffff, v3
	v_or_b32_e32 v3, 0x80000000, v3
	v_cndmask_b32_e32 v13, v13, v3, vcc
	v_add_f64 v[10:11], v[10:11], v[12:13]
	v_div_scale_f64 v[12:13], s[50:51], v[10:11], v[10:11], v[8:9]
	s_add_u32 s50, s58, s52
	s_addc_u32 s51, s59, s53
	s_nop 2
	global_load_dwordx2 v[18:19], v2, s[50:51]
	v_div_scale_f64 v[20:21], vcc, v[8:9], v[10:11], v[8:9]
	s_cmp_le_i32 s8, s38
	v_rcp_f64_e32 v[14:15], v[12:13]
	v_fma_f64 v[16:17], -v[12:13], v[14:15], 1.0
	v_fma_f64 v[14:15], v[14:15], v[16:17], v[14:15]
	v_fma_f64 v[16:17], -v[12:13], v[14:15], 1.0
	v_fma_f64 v[14:15], v[14:15], v[16:17], v[14:15]
	v_mul_f64 v[16:17], v[20:21], v[14:15]
	v_fma_f64 v[12:13], -v[12:13], v[16:17], v[20:21]
	v_div_fmas_f64 v[12:13], v[12:13], v[14:15], v[16:17]
	v_div_fixup_f64 v[8:9], v[12:13], v[10:11], v[8:9]
	v_mov_b32_e32 v12, 0
	v_mov_b32_e32 v13, 0
	v_add_f64 v[8:9], v[6:7], -v[8:9]
	s_waitcnt vmcnt(0)
	v_add_f64 v[18:19], v[18:19], -v[8:9]
	v_mul_f64 v[10:11], v[18:19], v[18:19]
	s_cbranch_scc1 .LBB2_98
; %bb.64:                               ;   in Loop: Header=BB2_54 Depth=2
	s_add_u32 s52, s14, s52
	s_addc_u32 s53, s15, s53
	global_load_dwordx2 v[14:15], v2, s[52:53] offset:-8
	global_load_dwordx2 v[20:21], v2, s[50:51] offset:-8
	s_waitcnt vmcnt(1)
	v_add_f64 v[12:13], v[10:11], v[14:15]
	v_div_scale_f64 v[16:17], s[52:53], v[12:13], v[12:13], v[10:11]
	v_rcp_f64_e32 v[22:23], v[16:17]
	v_fma_f64 v[25:26], -v[16:17], v[22:23], 1.0
	v_fma_f64 v[22:23], v[22:23], v[25:26], v[22:23]
	v_fma_f64 v[25:26], -v[16:17], v[22:23], 1.0
	v_fma_f64 v[22:23], v[22:23], v[25:26], v[22:23]
	v_div_scale_f64 v[25:26], vcc, v[10:11], v[12:13], v[10:11]
	v_mul_f64 v[27:28], v[25:26], v[22:23]
	v_fma_f64 v[16:17], -v[16:17], v[27:28], v[25:26]
	s_nop 1
	v_div_fmas_f64 v[16:17], v[16:17], v[22:23], v[27:28]
	v_div_fixup_f64 v[10:11], v[16:17], v[12:13], v[10:11]
	v_div_scale_f64 v[16:17], s[52:53], v[12:13], v[12:13], v[14:15]
	v_rcp_f64_e32 v[22:23], v[16:17]
	v_fma_f64 v[25:26], -v[16:17], v[22:23], 1.0
	v_fma_f64 v[22:23], v[22:23], v[25:26], v[22:23]
	v_fma_f64 v[25:26], -v[16:17], v[22:23], 1.0
	v_fma_f64 v[22:23], v[22:23], v[25:26], v[22:23]
	v_div_scale_f64 v[25:26], vcc, v[14:15], v[12:13], v[14:15]
	v_mul_f64 v[27:28], v[25:26], v[22:23]
	v_fma_f64 v[16:17], -v[16:17], v[27:28], v[25:26]
	s_nop 1
	v_div_fmas_f64 v[16:17], v[16:17], v[22:23], v[27:28]
	v_cmp_eq_f64_e32 vcc, 0, v[10:11]
	s_and_b64 vcc, exec, vcc
	v_div_fixup_f64 v[12:13], v[16:17], v[12:13], v[14:15]
	s_waitcnt vmcnt(0)
	v_add_f64 v[16:17], v[20:21], -v[8:9]
	v_mul_f64 v[22:23], v[18:19], v[12:13]
	v_fma_f64 v[16:17], v[10:11], v[16:17], -v[22:23]
	v_add_f64 v[20:21], v[20:21], -v[16:17]
	v_add_f64 v[18:19], v[18:19], v[20:21]
	global_store_dwordx2 v2, v[18:19], s[50:51]
	s_cbranch_vccnz .LBB2_66
; %bb.65:                               ;   in Loop: Header=BB2_54 Depth=2
	v_mul_f64 v[14:15], v[16:17], v[16:17]
	v_div_scale_f64 v[18:19], s[50:51], v[10:11], v[10:11], v[14:15]
	v_div_scale_f64 v[25:26], vcc, v[14:15], v[10:11], v[14:15]
	v_rcp_f64_e32 v[20:21], v[18:19]
	v_fma_f64 v[22:23], -v[18:19], v[20:21], 1.0
	v_fma_f64 v[20:21], v[20:21], v[22:23], v[20:21]
	v_fma_f64 v[22:23], -v[18:19], v[20:21], 1.0
	v_fma_f64 v[20:21], v[20:21], v[22:23], v[20:21]
	v_mul_f64 v[22:23], v[25:26], v[20:21]
	v_fma_f64 v[18:19], -v[18:19], v[22:23], v[25:26]
	v_div_fmas_f64 v[18:19], v[18:19], v[20:21], v[22:23]
	v_div_fixup_f64 v[14:15], v[18:19], v[10:11], v[14:15]
.LBB2_66:                               ;   in Loop: Header=BB2_54 Depth=2
	s_add_i32 s9, s8, -1
	s_cmp_le_i32 s9, s38
	s_cbranch_scc1 .LBB2_96
; %bb.67:                               ;   in Loop: Header=BB2_54 Depth=2
	s_add_i32 s50, s8, -2
	s_ashr_i32 s51, s50, 31
	s_lshl_b64 s[50:51], s[50:51], 3
	s_add_u32 s52, s68, s50
	s_addc_u32 s53, s69, s51
	s_add_u32 s56, s70, s50
	s_addc_u32 s57, s71, s51
	s_mov_b32 s9, -1
.LBB2_68:                               ;   Parent Loop BB2_3 Depth=1
                                        ;     Parent Loop BB2_54 Depth=2
                                        ; =>    This Inner Loop Header: Depth=3
	global_load_dwordx2 v[22:23], v2, s[56:57] offset:-8
	s_add_u32 s50, s56, -8
	s_addc_u32 s51, s57, -1
	s_cmp_eq_u32 s9, 0
	s_waitcnt vmcnt(0)
	v_add_f64 v[18:19], v[14:15], v[22:23]
	s_cbranch_scc1 .LBB2_70
; %bb.69:                               ;   in Loop: Header=BB2_68 Depth=3
	v_mul_f64 v[12:13], v[12:13], v[18:19]
	global_store_dwordx2 v2, v[12:13], s[56:57]
.LBB2_70:                               ;   in Loop: Header=BB2_68 Depth=3
	v_div_scale_f64 v[12:13], s[54:55], v[18:19], v[18:19], v[14:15]
	v_rcp_f64_e32 v[20:21], v[12:13]
	v_fma_f64 v[25:26], -v[12:13], v[20:21], 1.0
	v_fma_f64 v[20:21], v[20:21], v[25:26], v[20:21]
	v_fma_f64 v[25:26], -v[12:13], v[20:21], 1.0
	v_fma_f64 v[20:21], v[20:21], v[25:26], v[20:21]
	v_div_scale_f64 v[25:26], vcc, v[14:15], v[18:19], v[14:15]
	v_mul_f64 v[27:28], v[25:26], v[20:21]
	v_fma_f64 v[12:13], -v[12:13], v[27:28], v[25:26]
	s_nop 1
	v_div_fmas_f64 v[12:13], v[12:13], v[20:21], v[27:28]
	v_div_fixup_f64 v[20:21], v[12:13], v[18:19], v[14:15]
	v_div_scale_f64 v[12:13], s[54:55], v[18:19], v[18:19], v[22:23]
	s_add_u32 s54, s52, -8
	s_addc_u32 s55, s53, -1
	v_rcp_f64_e32 v[14:15], v[12:13]
	v_fma_f64 v[25:26], -v[12:13], v[14:15], 1.0
	v_fma_f64 v[14:15], v[14:15], v[25:26], v[14:15]
	v_fma_f64 v[25:26], -v[12:13], v[14:15], 1.0
	v_fma_f64 v[14:15], v[14:15], v[25:26], v[14:15]
	v_div_scale_f64 v[25:26], vcc, v[22:23], v[18:19], v[22:23]
	v_mul_f64 v[27:28], v[25:26], v[14:15]
	v_fma_f64 v[12:13], -v[12:13], v[27:28], v[25:26]
	s_nop 1
	v_div_fmas_f64 v[12:13], v[12:13], v[14:15], v[27:28]
	global_load_dwordx2 v[14:15], v2, s[52:53] offset:-8
	v_cmp_eq_f64_e32 vcc, 0, v[20:21]
	s_and_b64 vcc, exec, vcc
	v_div_fixup_f64 v[12:13], v[12:13], v[18:19], v[22:23]
	v_mul_f64 v[25:26], v[16:17], v[12:13]
	s_waitcnt vmcnt(0)
	v_add_f64 v[18:19], v[14:15], -v[8:9]
	v_fma_f64 v[18:19], v[20:21], v[18:19], -v[25:26]
	v_add_f64 v[14:15], v[14:15], -v[18:19]
	v_add_f64 v[14:15], v[16:17], v[14:15]
	global_store_dwordx2 v2, v[14:15], s[52:53]
	s_cbranch_vccz .LBB2_75
; %bb.71:                               ;   in Loop: Header=BB2_68 Depth=3
	v_mul_f64 v[14:15], v[10:11], v[22:23]
	s_cbranch_execnz .LBB2_73
.LBB2_72:                               ;   in Loop: Header=BB2_68 Depth=3
	v_mul_f64 v[10:11], v[18:19], v[18:19]
	v_div_scale_f64 v[14:15], s[52:53], v[20:21], v[20:21], v[10:11]
	v_div_scale_f64 v[25:26], vcc, v[10:11], v[20:21], v[10:11]
	v_rcp_f64_e32 v[16:17], v[14:15]
	v_fma_f64 v[22:23], -v[14:15], v[16:17], 1.0
	v_fma_f64 v[16:17], v[16:17], v[22:23], v[16:17]
	v_fma_f64 v[22:23], -v[14:15], v[16:17], 1.0
	v_fma_f64 v[16:17], v[16:17], v[22:23], v[16:17]
	v_mul_f64 v[22:23], v[25:26], v[16:17]
	v_fma_f64 v[14:15], -v[14:15], v[22:23], v[25:26]
	v_div_fmas_f64 v[14:15], v[14:15], v[16:17], v[22:23]
	v_div_fixup_f64 v[14:15], v[14:15], v[20:21], v[10:11]
.LBB2_73:                               ;   in Loop: Header=BB2_68 Depth=3
	s_add_i32 s9, s9, -1
	s_add_i32 s39, s8, s9
	s_cmp_le_i32 s39, s38
	s_cbranch_scc1 .LBB2_97
; %bb.74:                               ;   in Loop: Header=BB2_68 Depth=3
	v_mov_b32_e32 v10, v20
	v_mov_b32_e32 v16, v18
	s_mov_b64 s[56:57], s[50:51]
	s_mov_b64 s[52:53], s[54:55]
	v_mov_b32_e32 v11, v21
	v_mov_b32_e32 v17, v19
	s_branch .LBB2_68
.LBB2_75:                               ;   in Loop: Header=BB2_68 Depth=3
                                        ; implicit-def: $vgpr14_vgpr15
	s_branch .LBB2_72
.LBB2_76:                               ;   in Loop: Header=BB2_54 Depth=2
	s_mov_b32 s38, s9
	s_cbranch_execz .LBB2_53
	s_branch .LBB2_100
.LBB2_77:                               ;   in Loop: Header=BB2_54 Depth=2
	s_mov_b64 s[46:47], -1
	s_mov_b64 s[48:49], 0
                                        ; implicit-def: $sgpr9
.LBB2_78:                               ;   in Loop: Header=BB2_54 Depth=2
	s_and_b64 vcc, exec, s[46:47]
	s_cbranch_vccz .LBB2_99
.LBB2_79:                               ;   in Loop: Header=BB2_54 Depth=2
	s_add_u32 s44, s14, s44
	s_addc_u32 s45, s15, s45
	global_load_dwordx2 v[8:9], v2, s[44:45]
	s_waitcnt vmcnt(0)
	v_cmp_gt_f64_e32 vcc, s[16:17], v[8:9]
	s_and_b64 s[46:47], vcc, exec
	s_cselect_b32 s9, 0x100, 0
	v_ldexp_f64 v[8:9], v[8:9], s9
	s_cselect_b32 s39, 0xffffff80, 0
	s_ashr_i32 s9, s8, 31
	s_lshl_b64 s[8:9], s[8:9], 3
	s_add_u32 s46, s58, s8
	s_addc_u32 s47, s59, s9
	global_load_dwordx2 v[14:15], v2, s[46:47]
	v_rsq_f64_e32 v[10:11], v[8:9]
	v_cmp_class_f64_e32 vcc, v[8:9], v24
	v_mul_f64 v[12:13], v[8:9], v[10:11]
	v_mul_f64 v[10:11], v[10:11], 0.5
	v_fma_f64 v[16:17], -v[10:11], v[12:13], 0.5
	v_fma_f64 v[12:13], v[12:13], v[16:17], v[12:13]
	v_fma_f64 v[10:11], v[10:11], v[16:17], v[10:11]
	v_fma_f64 v[16:17], -v[12:13], v[12:13], v[8:9]
	v_fma_f64 v[12:13], v[16:17], v[10:11], v[12:13]
	v_fma_f64 v[16:17], -v[12:13], v[12:13], v[8:9]
	v_fma_f64 v[10:11], v[16:17], v[10:11], v[12:13]
	v_ldexp_f64 v[10:11], v[10:11], s39
	v_cndmask_b32_e32 v9, v11, v9, vcc
	v_cndmask_b32_e32 v8, v10, v8, vcc
	s_waitcnt vmcnt(0)
	v_add_f64 v[10:11], v[6:7], -v[14:15]
	v_add_f64 v[16:17], v[8:9], v[8:9]
	v_cmp_ngt_f64_e64 s[8:9], |v[10:11]|, |v[16:17]|
	s_and_b64 vcc, exec, s[8:9]
	s_cbranch_vccz .LBB2_82
; %bb.80:                               ;   in Loop: Header=BB2_54 Depth=2
	v_cmp_nlt_f64_e64 s[8:9], |v[10:11]|, |v[16:17]|
	s_and_b64 vcc, exec, s[8:9]
	s_cbranch_vccz .LBB2_83
; %bb.81:                               ;   in Loop: Header=BB2_54 Depth=2
	v_mul_f64 v[12:13], |v[16:17]|, s[24:25]
	s_cbranch_execz .LBB2_84
	s_branch .LBB2_85
.LBB2_82:                               ;   in Loop: Header=BB2_54 Depth=2
                                        ; implicit-def: $vgpr12_vgpr13
	s_branch .LBB2_86
.LBB2_83:                               ;   in Loop: Header=BB2_54 Depth=2
                                        ; implicit-def: $vgpr12_vgpr13
.LBB2_84:                               ;   in Loop: Header=BB2_54 Depth=2
	v_and_b32_e32 v13, 0x7fffffff, v11
	v_mov_b32_e32 v12, v10
	v_and_b32_e32 v19, 0x7fffffff, v17
	v_mov_b32_e32 v18, v16
	v_div_scale_f64 v[20:21], s[8:9], v[18:19], v[18:19], v[12:13]
	v_div_scale_f64 v[12:13], vcc, v[12:13], v[18:19], v[12:13]
	v_rcp_f64_e32 v[22:23], v[20:21]
	v_fma_f64 v[25:26], -v[20:21], v[22:23], 1.0
	v_fma_f64 v[22:23], v[22:23], v[25:26], v[22:23]
	v_fma_f64 v[18:19], -v[20:21], v[22:23], 1.0
	v_fma_f64 v[18:19], v[22:23], v[18:19], v[22:23]
	v_mul_f64 v[22:23], v[12:13], v[18:19]
	v_fma_f64 v[12:13], -v[20:21], v[22:23], v[12:13]
	v_div_fmas_f64 v[12:13], v[12:13], v[18:19], v[22:23]
	v_div_fixup_f64 v[12:13], v[12:13], |v[16:17]|, |v[10:11]|
	v_fma_f64 v[12:13], v[12:13], v[12:13], 1.0
	v_cmp_gt_f64_e32 vcc, s[16:17], v[12:13]
	s_and_b64 s[8:9], vcc, exec
	s_cselect_b32 s8, 0x100, 0
	v_ldexp_f64 v[12:13], v[12:13], s8
	s_cselect_b32 s8, 0xffffff80, 0
	v_rsq_f64_e32 v[18:19], v[12:13]
	v_cmp_class_f64_e32 vcc, v[12:13], v24
	v_mul_f64 v[20:21], v[12:13], v[18:19]
	v_mul_f64 v[18:19], v[18:19], 0.5
	v_fma_f64 v[22:23], -v[18:19], v[20:21], 0.5
	v_fma_f64 v[20:21], v[20:21], v[22:23], v[20:21]
	v_fma_f64 v[18:19], v[18:19], v[22:23], v[18:19]
	v_fma_f64 v[22:23], -v[20:21], v[20:21], v[12:13]
	v_fma_f64 v[20:21], v[22:23], v[18:19], v[20:21]
	v_fma_f64 v[22:23], -v[20:21], v[20:21], v[12:13]
	v_fma_f64 v[18:19], v[22:23], v[18:19], v[20:21]
	v_ldexp_f64 v[18:19], v[18:19], s8
	v_cndmask_b32_e32 v13, v19, v13, vcc
	v_cndmask_b32_e32 v12, v18, v12, vcc
	v_mul_f64 v[12:13], |v[16:17]|, v[12:13]
.LBB2_85:                               ;   in Loop: Header=BB2_54 Depth=2
	s_cbranch_execnz .LBB2_87
.LBB2_86:                               ;   in Loop: Header=BB2_54 Depth=2
	v_and_b32_e32 v13, 0x7fffffff, v17
	v_mov_b32_e32 v12, v16
	v_and_b32_e32 v19, 0x7fffffff, v11
	v_mov_b32_e32 v18, v10
	v_div_scale_f64 v[20:21], s[8:9], v[18:19], v[18:19], v[12:13]
	v_div_scale_f64 v[12:13], vcc, v[12:13], v[18:19], v[12:13]
	v_rcp_f64_e32 v[22:23], v[20:21]
	v_fma_f64 v[25:26], -v[20:21], v[22:23], 1.0
	v_fma_f64 v[22:23], v[22:23], v[25:26], v[22:23]
	v_fma_f64 v[18:19], -v[20:21], v[22:23], 1.0
	v_fma_f64 v[18:19], v[22:23], v[18:19], v[22:23]
	v_mul_f64 v[22:23], v[12:13], v[18:19]
	v_fma_f64 v[12:13], -v[20:21], v[22:23], v[12:13]
	v_div_fmas_f64 v[12:13], v[12:13], v[18:19], v[22:23]
	v_div_fixup_f64 v[12:13], v[12:13], |v[10:11]|, |v[16:17]|
	v_fma_f64 v[12:13], v[12:13], v[12:13], 1.0
	v_cmp_gt_f64_e32 vcc, s[16:17], v[12:13]
	s_and_b64 s[8:9], vcc, exec
	s_cselect_b32 s8, 0x100, 0
	v_ldexp_f64 v[12:13], v[12:13], s8
	s_cselect_b32 s8, 0xffffff80, 0
	v_rsq_f64_e32 v[16:17], v[12:13]
	v_cmp_class_f64_e32 vcc, v[12:13], v24
	v_mul_f64 v[18:19], v[12:13], v[16:17]
	v_mul_f64 v[16:17], v[16:17], 0.5
	v_fma_f64 v[20:21], -v[16:17], v[18:19], 0.5
	v_fma_f64 v[18:19], v[18:19], v[20:21], v[18:19]
	v_fma_f64 v[16:17], v[16:17], v[20:21], v[16:17]
	v_fma_f64 v[20:21], -v[18:19], v[18:19], v[12:13]
	v_fma_f64 v[18:19], v[20:21], v[16:17], v[18:19]
	v_fma_f64 v[20:21], -v[18:19], v[18:19], v[12:13]
	v_fma_f64 v[16:17], v[20:21], v[16:17], v[18:19]
	v_ldexp_f64 v[16:17], v[16:17], s8
	v_cndmask_b32_e32 v13, v17, v13, vcc
	v_cndmask_b32_e32 v12, v16, v12, vcc
	v_mul_f64 v[12:13], |v[10:11]|, v[12:13]
.LBB2_87:                               ;   in Loop: Header=BB2_54 Depth=2
	v_add_f64 v[16:17], v[6:7], v[14:15]
	v_cmp_gt_f64_e64 vcc, |v[6:7]|, |v[14:15]|
	v_cmp_ngt_f64_e64 s[8:9], 0, v[16:17]
	v_cndmask_b32_e32 v11, v7, v15, vcc
	v_cndmask_b32_e32 v10, v6, v14, vcc
	;; [unrolled: 1-line block ×4, first 2 shown]
	s_and_b64 vcc, exec, s[8:9]
	s_cbranch_vccz .LBB2_90
; %bb.88:                               ;   in Loop: Header=BB2_54 Depth=2
	v_cmp_nlt_f64_e32 vcc, 0, v[16:17]
	s_cbranch_vccz .LBB2_91
; %bb.89:                               ;   in Loop: Header=BB2_54 Depth=2
	v_mul_f64 v[6:7], v[12:13], 0.5
	v_mul_f64 v[18:19], v[12:13], -0.5
	s_cbranch_execz .LBB2_92
	s_branch .LBB2_93
.LBB2_90:                               ;   in Loop: Header=BB2_54 Depth=2
                                        ; implicit-def: $vgpr18_vgpr19
                                        ; implicit-def: $vgpr6_vgpr7
	s_branch .LBB2_94
.LBB2_91:                               ;   in Loop: Header=BB2_54 Depth=2
                                        ; implicit-def: $vgpr18_vgpr19
                                        ; implicit-def: $vgpr6_vgpr7
.LBB2_92:                               ;   in Loop: Header=BB2_54 Depth=2
	v_add_f64 v[6:7], v[16:17], v[12:13]
	v_mul_f64 v[6:7], v[6:7], 0.5
	v_div_scale_f64 v[18:19], s[8:9], v[6:7], v[6:7], v[14:15]
	v_rcp_f64_e32 v[20:21], v[18:19]
	v_fma_f64 v[22:23], -v[18:19], v[20:21], 1.0
	v_fma_f64 v[20:21], v[20:21], v[22:23], v[20:21]
	v_fma_f64 v[22:23], -v[18:19], v[20:21], 1.0
	v_fma_f64 v[20:21], v[20:21], v[22:23], v[20:21]
	v_div_scale_f64 v[22:23], vcc, v[14:15], v[6:7], v[14:15]
	v_mul_f64 v[25:26], v[22:23], v[20:21]
	v_fma_f64 v[18:19], -v[18:19], v[25:26], v[22:23]
	s_nop 1
	v_div_fmas_f64 v[18:19], v[18:19], v[20:21], v[25:26]
	v_div_scale_f64 v[20:21], s[8:9], v[6:7], v[6:7], v[8:9]
	v_div_fixup_f64 v[18:19], v[18:19], v[6:7], v[14:15]
	v_rcp_f64_e32 v[22:23], v[20:21]
	v_fma_f64 v[25:26], -v[20:21], v[22:23], 1.0
	v_fma_f64 v[22:23], v[22:23], v[25:26], v[22:23]
	v_fma_f64 v[25:26], -v[20:21], v[22:23], 1.0
	v_fma_f64 v[22:23], v[22:23], v[25:26], v[22:23]
	v_div_scale_f64 v[25:26], vcc, v[8:9], v[6:7], v[8:9]
	v_mul_f64 v[27:28], v[25:26], v[22:23]
	v_fma_f64 v[20:21], -v[20:21], v[27:28], v[25:26]
	s_nop 1
	v_div_fmas_f64 v[20:21], v[20:21], v[22:23], v[27:28]
	v_div_fixup_f64 v[20:21], v[20:21], v[6:7], v[8:9]
	v_mul_f64 v[20:21], v[8:9], v[20:21]
	v_fma_f64 v[18:19], v[10:11], v[18:19], -v[20:21]
.LBB2_93:                               ;   in Loop: Header=BB2_54 Depth=2
	s_cbranch_execnz .LBB2_95
.LBB2_94:                               ;   in Loop: Header=BB2_54 Depth=2
	v_add_f64 v[6:7], v[16:17], -v[12:13]
	v_mul_f64 v[6:7], v[6:7], 0.5
	v_div_scale_f64 v[12:13], s[8:9], v[6:7], v[6:7], v[14:15]
	v_rcp_f64_e32 v[16:17], v[12:13]
	v_fma_f64 v[18:19], -v[12:13], v[16:17], 1.0
	v_fma_f64 v[16:17], v[16:17], v[18:19], v[16:17]
	v_fma_f64 v[18:19], -v[12:13], v[16:17], 1.0
	v_fma_f64 v[16:17], v[16:17], v[18:19], v[16:17]
	v_div_scale_f64 v[18:19], vcc, v[14:15], v[6:7], v[14:15]
	v_mul_f64 v[20:21], v[18:19], v[16:17]
	v_fma_f64 v[12:13], -v[12:13], v[20:21], v[18:19]
	s_nop 1
	v_div_fmas_f64 v[12:13], v[12:13], v[16:17], v[20:21]
	v_div_fixup_f64 v[12:13], v[12:13], v[6:7], v[14:15]
	v_div_scale_f64 v[14:15], s[8:9], v[6:7], v[6:7], v[8:9]
	v_rcp_f64_e32 v[16:17], v[14:15]
	v_fma_f64 v[18:19], -v[14:15], v[16:17], 1.0
	v_fma_f64 v[16:17], v[16:17], v[18:19], v[16:17]
	v_fma_f64 v[18:19], -v[14:15], v[16:17], 1.0
	v_fma_f64 v[16:17], v[16:17], v[18:19], v[16:17]
	v_div_scale_f64 v[18:19], vcc, v[8:9], v[6:7], v[8:9]
	v_mul_f64 v[20:21], v[18:19], v[16:17]
	v_fma_f64 v[14:15], -v[14:15], v[20:21], v[18:19]
	s_nop 1
	v_div_fmas_f64 v[14:15], v[14:15], v[16:17], v[20:21]
	v_div_fixup_f64 v[14:15], v[14:15], v[6:7], v[8:9]
	v_mul_f64 v[8:9], v[8:9], v[14:15]
	v_fma_f64 v[18:19], v[10:11], v[12:13], -v[8:9]
.LBB2_95:                               ;   in Loop: Header=BB2_54 Depth=2
	v_mov_b32_e32 v3, v2
	global_store_dwordx2 v2, v[6:7], s[42:43]
	global_store_dwordx2 v2, v[18:19], s[46:47]
	;; [unrolled: 1-line block ×3, first 2 shown]
	s_add_i32 s38, s38, 2
	s_cbranch_execz .LBB2_53
	s_branch .LBB2_100
.LBB2_96:                               ;   in Loop: Header=BB2_54 Depth=2
	v_mov_b32_e32 v19, v17
	v_mov_b32_e32 v18, v16
.LBB2_97:                               ;   in Loop: Header=BB2_54 Depth=2
	v_mov_b32_e32 v10, v14
	v_mov_b32_e32 v11, v15
.LBB2_98:                               ;   in Loop: Header=BB2_54 Depth=2
	v_mul_f64 v[10:11], v[12:13], v[10:11]
	v_add_f64 v[8:9], v[8:9], v[18:19]
	s_add_i32 s9, s37, 1
	global_store_dwordx2 v2, v[10:11], s[48:49]
	global_store_dwordx2 v2, v[8:9], s[42:43]
	s_mov_b64 s[48:49], -1
	s_and_b64 vcc, exec, s[46:47]
	s_cbranch_vccnz .LBB2_79
.LBB2_99:                               ;   in Loop: Header=BB2_54 Depth=2
	s_mov_b32 s37, s9
	s_and_b64 vcc, exec, s[48:49]
	s_cbranch_vccz .LBB2_53
.LBB2_100:                              ;   in Loop: Header=BB2_54 Depth=2
	s_cmp_gt_i32 s38, s29
	s_cselect_b64 s[8:9], -1, 0
	s_cmp_ge_i32 s37, s60
	s_cselect_b64 s[40:41], -1, 0
	s_or_b64 s[40:41], s[8:9], s[40:41]
	s_branch .LBB2_53
.LBB2_101:                              ;   in Loop: Header=BB2_102 Depth=2
	s_andn2_b64 vcc, exec, s[8:9]
	s_cbranch_vccz .LBB2_43
.LBB2_102:                              ;   Parent Loop BB2_3 Depth=1
                                        ; =>  This Loop Header: Depth=2
                                        ;       Child Loop BB2_104 Depth 3
                                        ;       Child Loop BB2_117 Depth 3
	s_ashr_i32 s37, s36, 31
	s_min_i32 s2, s29, s36
	s_lshl_b64 s[42:43], s[36:37], 3
	s_add_u32 s38, s66, s42
	s_addc_u32 s39, s67, s43
	s_add_u32 s8, s70, s42
	s_addc_u32 s9, s71, s43
	s_mov_b32 s3, s36
	s_mov_b64 s[40:41], -1
	s_cmp_le_i32 s3, s29
	s_mov_b64 s[44:45], -1
                                        ; implicit-def: $sgpr37
	s_cbranch_scc1 .LBB2_104
.LBB2_103:                              ;   in Loop: Header=BB2_102 Depth=2
	global_load_dwordx4 v[6:9], v2, s[38:39] offset:-8
	global_load_dwordx2 v[10:11], v2, s[8:9] offset:-16
	s_add_i32 s37, s3, -1
	s_add_u32 s38, s38, -8
	s_addc_u32 s39, s39, -1
	s_add_u32 s8, s8, -8
	s_addc_u32 s9, s9, -1
	s_mov_b64 s[40:41], 0
	s_waitcnt vmcnt(1)
	v_mul_f64 v[6:7], v[8:9], v[6:7]
	v_mul_f64 v[6:7], v[0:1], |v[6:7]|
	s_waitcnt vmcnt(0)
	v_cmp_le_f64_e64 s[44:45], |v[10:11]|, v[6:7]
.LBB2_104:                              ;   Parent Loop BB2_3 Depth=1
                                        ;     Parent Loop BB2_102 Depth=2
                                        ; =>    This Inner Loop Header: Depth=3
	s_andn2_b64 vcc, exec, s[44:45]
	s_cbranch_vccz .LBB2_106
; %bb.105:                              ;   in Loop: Header=BB2_104 Depth=3
	s_mov_b32 s3, s37
	s_mov_b64 s[40:41], -1
	s_cmp_le_i32 s3, s29
	s_mov_b64 s[44:45], -1
                                        ; implicit-def: $sgpr37
	s_cbranch_scc0 .LBB2_103
	s_branch .LBB2_104
.LBB2_106:                              ;   in Loop: Header=BB2_102 Depth=2
	s_andn2_b64 vcc, exec, s[40:41]
	s_cbranch_vccz .LBB2_108
; %bb.107:                              ;   in Loop: Header=BB2_102 Depth=2
	v_mov_b32_e32 v3, v2
	s_mov_b32 s2, s3
	global_store_dwordx2 v2, v[2:3], s[8:9] offset:-8
.LBB2_108:                              ;   in Loop: Header=BB2_102 Depth=2
	s_add_i32 s3, s36, -1
	s_cmp_eq_u32 s2, s36
	s_mov_b64 s[8:9], -1
	s_cbranch_scc1 .LBB2_123
; %bb.109:                              ;   in Loop: Header=BB2_102 Depth=2
	s_add_u32 s38, s58, s42
	s_addc_u32 s39, s59, s43
	global_load_dwordx2 v[6:7], v2, s[38:39]
	s_cmp_lg_u32 s2, s3
	s_cbranch_scc0 .LBB2_124
; %bb.110:                              ;   in Loop: Header=BB2_102 Depth=2
	s_mov_b64 s[40:41], 0
	s_cmp_lg_u32 s73, s60
	s_mov_b32 s3, s60
	s_mov_b64 s[44:45], 0
	s_cbranch_scc0 .LBB2_125
; %bb.111:                              ;   in Loop: Header=BB2_102 Depth=2
	s_add_u32 s42, s14, s42
	s_addc_u32 s43, s15, s43
	global_load_dwordx2 v[8:9], v2, s[42:43] offset:-8
	global_load_dwordx2 v[10:11], v2, s[38:39] offset:-8
	s_waitcnt vmcnt(1)
	v_cmp_gt_f64_e32 vcc, s[16:17], v[8:9]
	s_waitcnt vmcnt(0)
	v_add_f64 v[10:11], v[10:11], -v[6:7]
	s_and_b64 s[44:45], vcc, exec
	s_cselect_b32 s3, 0x100, 0
	v_ldexp_f64 v[8:9], v[8:9], s3
	s_cselect_b32 s3, 0xffffff80, 0
	v_rsq_f64_e32 v[12:13], v[8:9]
	v_cmp_class_f64_e32 vcc, v[8:9], v24
	v_mul_f64 v[14:15], v[8:9], v[12:13]
	v_mul_f64 v[12:13], v[12:13], 0.5
	v_fma_f64 v[16:17], -v[12:13], v[14:15], 0.5
	v_fma_f64 v[14:15], v[14:15], v[16:17], v[14:15]
	v_fma_f64 v[12:13], v[12:13], v[16:17], v[12:13]
	v_fma_f64 v[16:17], -v[14:15], v[14:15], v[8:9]
	v_fma_f64 v[14:15], v[16:17], v[12:13], v[14:15]
	v_fma_f64 v[16:17], -v[14:15], v[14:15], v[8:9]
	v_fma_f64 v[12:13], v[16:17], v[12:13], v[14:15]
	v_ldexp_f64 v[12:13], v[12:13], s3
	v_cndmask_b32_e32 v9, v13, v9, vcc
	v_cndmask_b32_e32 v8, v12, v8, vcc
	v_add_f64 v[12:13], v[8:9], v[8:9]
	v_div_scale_f64 v[14:15], s[44:45], v[12:13], v[12:13], v[10:11]
	v_rcp_f64_e32 v[16:17], v[14:15]
	v_fma_f64 v[18:19], -v[14:15], v[16:17], 1.0
	v_fma_f64 v[16:17], v[16:17], v[18:19], v[16:17]
	v_div_scale_f64 v[18:19], vcc, v[10:11], v[12:13], v[10:11]
	v_fma_f64 v[20:21], -v[14:15], v[16:17], 1.0
	v_fma_f64 v[16:17], v[16:17], v[20:21], v[16:17]
	v_mul_f64 v[20:21], v[18:19], v[16:17]
	v_fma_f64 v[14:15], -v[14:15], v[20:21], v[18:19]
	v_div_fmas_f64 v[14:15], v[14:15], v[16:17], v[20:21]
	v_div_fixup_f64 v[10:11], v[14:15], v[12:13], v[10:11]
	v_fma_f64 v[12:13], v[10:11], v[10:11], 1.0
	v_cmp_gt_f64_e32 vcc, s[16:17], v[12:13]
	s_and_b64 s[44:45], vcc, exec
	s_cselect_b32 s3, 0x100, 0
	v_ldexp_f64 v[12:13], v[12:13], s3
	s_cselect_b32 s3, 0xffffff80, 0
	v_rsq_f64_e32 v[14:15], v[12:13]
	v_cmp_class_f64_e32 vcc, v[12:13], v24
	v_mul_f64 v[16:17], v[12:13], v[14:15]
	v_mul_f64 v[14:15], v[14:15], 0.5
	v_fma_f64 v[18:19], -v[14:15], v[16:17], 0.5
	v_fma_f64 v[16:17], v[16:17], v[18:19], v[16:17]
	v_fma_f64 v[14:15], v[14:15], v[18:19], v[14:15]
	v_fma_f64 v[18:19], -v[16:17], v[16:17], v[12:13]
	v_fma_f64 v[16:17], v[18:19], v[14:15], v[16:17]
	v_fma_f64 v[18:19], -v[16:17], v[16:17], v[12:13]
	v_fma_f64 v[14:15], v[18:19], v[14:15], v[16:17]
	v_ldexp_f64 v[14:15], v[14:15], s3
	s_ashr_i32 s3, s2, 31
	s_lshl_b64 s[46:47], s[2:3], 3
	v_cndmask_b32_e32 v3, v15, v13, vcc
	v_cndmask_b32_e32 v12, v14, v12, vcc
	v_cmp_nle_f64_e32 vcc, 0, v[10:11]
	v_and_b32_e32 v13, 0x7fffffff, v3
	v_or_b32_e32 v3, 0x80000000, v3
	v_cndmask_b32_e32 v13, v13, v3, vcc
	v_add_f64 v[10:11], v[10:11], v[12:13]
	v_div_scale_f64 v[12:13], s[44:45], v[10:11], v[10:11], v[8:9]
	s_add_u32 s44, s58, s46
	s_addc_u32 s45, s59, s47
	s_nop 2
	global_load_dwordx2 v[18:19], v2, s[44:45]
	v_div_scale_f64 v[20:21], vcc, v[8:9], v[10:11], v[8:9]
	s_cmp_ge_i32 s2, s36
	v_rcp_f64_e32 v[14:15], v[12:13]
	v_fma_f64 v[16:17], -v[12:13], v[14:15], 1.0
	v_fma_f64 v[14:15], v[14:15], v[16:17], v[14:15]
	v_fma_f64 v[16:17], -v[12:13], v[14:15], 1.0
	v_fma_f64 v[14:15], v[14:15], v[16:17], v[14:15]
	v_mul_f64 v[16:17], v[20:21], v[14:15]
	v_fma_f64 v[12:13], -v[12:13], v[16:17], v[20:21]
	v_div_fmas_f64 v[12:13], v[12:13], v[14:15], v[16:17]
	v_div_fixup_f64 v[8:9], v[12:13], v[10:11], v[8:9]
	v_mov_b32_e32 v10, 0
	v_mov_b32_e32 v11, 0
	v_add_f64 v[8:9], v[6:7], -v[8:9]
	s_waitcnt vmcnt(0)
	v_add_f64 v[16:17], v[18:19], -v[8:9]
	v_mul_f64 v[12:13], v[16:17], v[16:17]
	s_cbranch_scc1 .LBB2_145
; %bb.112:                              ;   in Loop: Header=BB2_102 Depth=2
	s_add_u32 s46, s14, s46
	s_addc_u32 s47, s15, s47
	global_load_dwordx2 v[14:15], v2, s[46:47]
	s_waitcnt vmcnt(0)
	v_add_f64 v[10:11], v[12:13], v[14:15]
	v_div_scale_f64 v[18:19], s[46:47], v[10:11], v[10:11], v[12:13]
	v_rcp_f64_e32 v[20:21], v[18:19]
	v_fma_f64 v[22:23], -v[18:19], v[20:21], 1.0
	v_fma_f64 v[20:21], v[20:21], v[22:23], v[20:21]
	v_fma_f64 v[22:23], -v[18:19], v[20:21], 1.0
	v_fma_f64 v[20:21], v[20:21], v[22:23], v[20:21]
	v_div_scale_f64 v[22:23], vcc, v[12:13], v[10:11], v[12:13]
	v_mul_f64 v[25:26], v[22:23], v[20:21]
	v_fma_f64 v[18:19], -v[18:19], v[25:26], v[22:23]
	s_nop 1
	v_div_fmas_f64 v[18:19], v[18:19], v[20:21], v[25:26]
	v_div_fixup_f64 v[12:13], v[18:19], v[10:11], v[12:13]
	v_div_scale_f64 v[18:19], s[46:47], v[10:11], v[10:11], v[14:15]
	v_rcp_f64_e32 v[20:21], v[18:19]
	v_fma_f64 v[22:23], -v[18:19], v[20:21], 1.0
	v_fma_f64 v[20:21], v[20:21], v[22:23], v[20:21]
	v_fma_f64 v[22:23], -v[18:19], v[20:21], 1.0
	v_fma_f64 v[20:21], v[20:21], v[22:23], v[20:21]
	v_div_scale_f64 v[22:23], vcc, v[14:15], v[10:11], v[14:15]
	v_mul_f64 v[25:26], v[22:23], v[20:21]
	v_fma_f64 v[18:19], -v[18:19], v[25:26], v[22:23]
	s_nop 1
	v_div_fmas_f64 v[18:19], v[18:19], v[20:21], v[25:26]
	global_load_dwordx2 v[20:21], v2, s[44:45] offset:8
	v_cmp_eq_f64_e32 vcc, 0, v[12:13]
	s_and_b64 vcc, exec, vcc
	v_div_fixup_f64 v[10:11], v[18:19], v[10:11], v[14:15]
	v_mul_f64 v[22:23], v[16:17], v[10:11]
	s_waitcnt vmcnt(0)
	v_add_f64 v[18:19], v[20:21], -v[8:9]
	v_fma_f64 v[18:19], v[12:13], v[18:19], -v[22:23]
	v_add_f64 v[20:21], v[20:21], -v[18:19]
	v_add_f64 v[16:17], v[16:17], v[20:21]
	global_store_dwordx2 v2, v[16:17], s[44:45]
	s_cbranch_vccnz .LBB2_114
; %bb.113:                              ;   in Loop: Header=BB2_102 Depth=2
	v_mul_f64 v[14:15], v[18:19], v[18:19]
	v_div_scale_f64 v[16:17], s[44:45], v[12:13], v[12:13], v[14:15]
	v_div_scale_f64 v[25:26], vcc, v[14:15], v[12:13], v[14:15]
	v_rcp_f64_e32 v[20:21], v[16:17]
	v_fma_f64 v[22:23], -v[16:17], v[20:21], 1.0
	v_fma_f64 v[20:21], v[20:21], v[22:23], v[20:21]
	v_fma_f64 v[22:23], -v[16:17], v[20:21], 1.0
	v_fma_f64 v[20:21], v[20:21], v[22:23], v[20:21]
	v_mul_f64 v[22:23], v[25:26], v[20:21]
	v_fma_f64 v[16:17], -v[16:17], v[22:23], v[25:26]
	v_div_fmas_f64 v[16:17], v[16:17], v[20:21], v[22:23]
	v_div_fixup_f64 v[14:15], v[16:17], v[12:13], v[14:15]
.LBB2_114:                              ;   in Loop: Header=BB2_102 Depth=2
	s_add_i32 s44, s2, 1
	s_cmp_ge_i32 s44, s36
	s_cbranch_scc1 .LBB2_143
; %bb.115:                              ;   in Loop: Header=BB2_102 Depth=2
	s_ashr_i32 s45, s44, 31
	s_lshl_b64 s[46:47], s[44:45], 3
	s_add_u32 s44, s62, s46
	s_addc_u32 s45, s63, s47
	s_add_u32 s46, s68, s46
	s_addc_u32 s47, s69, s47
	s_mov_b32 s3, 1
	global_load_dwordx2 v[22:23], v2, s[44:45]
	s_cmp_eq_u32 s3, 0
	s_waitcnt vmcnt(0)
	v_add_f64 v[16:17], v[14:15], v[22:23]
	s_cbranch_scc1 .LBB2_117
.LBB2_116:                              ;   in Loop: Header=BB2_102 Depth=2
	v_mul_f64 v[10:11], v[10:11], v[16:17]
	global_store_dwordx2 v2, v[10:11], s[44:45] offset:-8
.LBB2_117:                              ;   Parent Loop BB2_3 Depth=1
                                        ;     Parent Loop BB2_102 Depth=2
                                        ; =>    This Inner Loop Header: Depth=3
	v_div_scale_f64 v[10:11], s[48:49], v[16:17], v[16:17], v[14:15]
	v_rcp_f64_e32 v[20:21], v[10:11]
	v_fma_f64 v[25:26], -v[10:11], v[20:21], 1.0
	v_fma_f64 v[20:21], v[20:21], v[25:26], v[20:21]
	v_fma_f64 v[25:26], -v[10:11], v[20:21], 1.0
	v_fma_f64 v[20:21], v[20:21], v[25:26], v[20:21]
	v_div_scale_f64 v[25:26], vcc, v[14:15], v[16:17], v[14:15]
	v_mul_f64 v[27:28], v[25:26], v[20:21]
	v_fma_f64 v[10:11], -v[10:11], v[27:28], v[25:26]
	s_nop 1
	v_div_fmas_f64 v[10:11], v[10:11], v[20:21], v[27:28]
	v_div_fixup_f64 v[20:21], v[10:11], v[16:17], v[14:15]
	v_div_scale_f64 v[10:11], s[48:49], v[16:17], v[16:17], v[22:23]
	v_rcp_f64_e32 v[14:15], v[10:11]
	v_fma_f64 v[25:26], -v[10:11], v[14:15], 1.0
	v_fma_f64 v[14:15], v[14:15], v[25:26], v[14:15]
	v_fma_f64 v[25:26], -v[10:11], v[14:15], 1.0
	v_fma_f64 v[14:15], v[14:15], v[25:26], v[14:15]
	v_div_scale_f64 v[25:26], vcc, v[22:23], v[16:17], v[22:23]
	v_mul_f64 v[27:28], v[25:26], v[14:15]
	v_fma_f64 v[10:11], -v[10:11], v[27:28], v[25:26]
	s_nop 1
	v_div_fmas_f64 v[10:11], v[10:11], v[14:15], v[27:28]
	global_load_dwordx2 v[14:15], v2, s[46:47]
	v_cmp_eq_f64_e32 vcc, 0, v[20:21]
	s_and_b64 vcc, exec, vcc
	v_div_fixup_f64 v[10:11], v[10:11], v[16:17], v[22:23]
	v_mul_f64 v[25:26], v[18:19], v[10:11]
	s_waitcnt vmcnt(0)
	v_add_f64 v[16:17], v[14:15], -v[8:9]
	v_fma_f64 v[16:17], v[20:21], v[16:17], -v[25:26]
	v_add_f64 v[14:15], v[14:15], -v[16:17]
	v_add_f64 v[14:15], v[18:19], v[14:15]
	global_store_dwordx2 v2, v[14:15], s[46:47] offset:-8
	s_cbranch_vccz .LBB2_122
; %bb.118:                              ;   in Loop: Header=BB2_117 Depth=3
	v_mul_f64 v[14:15], v[12:13], v[22:23]
	s_cbranch_execnz .LBB2_120
.LBB2_119:                              ;   in Loop: Header=BB2_117 Depth=3
	v_mul_f64 v[12:13], v[16:17], v[16:17]
	v_div_scale_f64 v[14:15], s[48:49], v[20:21], v[20:21], v[12:13]
	v_div_scale_f64 v[25:26], vcc, v[12:13], v[20:21], v[12:13]
	v_rcp_f64_e32 v[18:19], v[14:15]
	v_fma_f64 v[22:23], -v[14:15], v[18:19], 1.0
	v_fma_f64 v[18:19], v[18:19], v[22:23], v[18:19]
	v_fma_f64 v[22:23], -v[14:15], v[18:19], 1.0
	v_fma_f64 v[18:19], v[18:19], v[22:23], v[18:19]
	v_mul_f64 v[22:23], v[25:26], v[18:19]
	v_fma_f64 v[14:15], -v[14:15], v[22:23], v[25:26]
	v_div_fmas_f64 v[14:15], v[14:15], v[18:19], v[22:23]
	v_div_fixup_f64 v[14:15], v[14:15], v[20:21], v[12:13]
.LBB2_120:                              ;   in Loop: Header=BB2_117 Depth=3
	s_add_i32 s3, s3, 1
	s_add_i32 s37, s2, s3
	s_add_u32 s44, s44, 8
	s_addc_u32 s45, s45, 0
	s_add_u32 s46, s46, 8
	s_addc_u32 s47, s47, 0
	s_cmp_ge_i32 s37, s36
	s_cbranch_scc1 .LBB2_144
; %bb.121:                              ;   in Loop: Header=BB2_117 Depth=3
	v_mov_b32_e32 v12, v20
	v_mov_b32_e32 v19, v17
	;; [unrolled: 1-line block ×4, first 2 shown]
	global_load_dwordx2 v[22:23], v2, s[44:45]
	s_cmp_eq_u32 s3, 0
	s_waitcnt vmcnt(0)
	v_add_f64 v[16:17], v[14:15], v[22:23]
	s_cbranch_scc0 .LBB2_116
	s_branch .LBB2_117
.LBB2_122:                              ;   in Loop: Header=BB2_117 Depth=3
                                        ; implicit-def: $vgpr14_vgpr15
	s_branch .LBB2_119
.LBB2_123:                              ;   in Loop: Header=BB2_102 Depth=2
	s_mov_b32 s36, s3
	s_cbranch_execz .LBB2_101
	s_branch .LBB2_147
.LBB2_124:                              ;   in Loop: Header=BB2_102 Depth=2
	s_mov_b64 s[40:41], -1
	s_mov_b64 s[44:45], 0
                                        ; implicit-def: $sgpr3
.LBB2_125:                              ;   in Loop: Header=BB2_102 Depth=2
	s_and_b64 vcc, exec, s[40:41]
	s_cbranch_vccz .LBB2_146
.LBB2_126:                              ;   in Loop: Header=BB2_102 Depth=2
	s_ashr_i32 s3, s2, 31
	s_lshl_b64 s[2:3], s[2:3], 3
	s_add_u32 s40, s14, s2
	s_addc_u32 s41, s15, s3
	global_load_dwordx2 v[8:9], v2, s[40:41]
	s_waitcnt vmcnt(0)
	v_cmp_gt_f64_e32 vcc, s[16:17], v[8:9]
	s_and_b64 s[42:43], vcc, exec
	s_cselect_b32 s37, 0x100, 0
	v_ldexp_f64 v[8:9], v[8:9], s37
	s_cselect_b32 s37, 0xffffff80, 0
	s_add_u32 s42, s58, s2
	s_addc_u32 s43, s59, s3
	global_load_dwordx2 v[10:11], v2, s[42:43]
	v_rsq_f64_e32 v[12:13], v[8:9]
	v_cmp_class_f64_e32 vcc, v[8:9], v24
	v_mul_f64 v[14:15], v[8:9], v[12:13]
	v_mul_f64 v[12:13], v[12:13], 0.5
	v_fma_f64 v[16:17], -v[12:13], v[14:15], 0.5
	v_fma_f64 v[14:15], v[14:15], v[16:17], v[14:15]
	v_fma_f64 v[12:13], v[12:13], v[16:17], v[12:13]
	v_fma_f64 v[16:17], -v[14:15], v[14:15], v[8:9]
	v_fma_f64 v[14:15], v[16:17], v[12:13], v[14:15]
	v_fma_f64 v[16:17], -v[14:15], v[14:15], v[8:9]
	v_fma_f64 v[12:13], v[16:17], v[12:13], v[14:15]
	v_ldexp_f64 v[12:13], v[12:13], s37
	s_waitcnt vmcnt(0)
	v_add_f64 v[14:15], v[6:7], -v[10:11]
	v_cndmask_b32_e32 v9, v13, v9, vcc
	v_cndmask_b32_e32 v8, v12, v8, vcc
	v_add_f64 v[16:17], v[8:9], v[8:9]
	v_cmp_ngt_f64_e64 s[2:3], |v[14:15]|, |v[16:17]|
	s_and_b64 vcc, exec, s[2:3]
	s_cbranch_vccz .LBB2_129
; %bb.127:                              ;   in Loop: Header=BB2_102 Depth=2
	v_cmp_nlt_f64_e64 s[2:3], |v[14:15]|, |v[16:17]|
	s_and_b64 vcc, exec, s[2:3]
	s_cbranch_vccz .LBB2_130
; %bb.128:                              ;   in Loop: Header=BB2_102 Depth=2
	v_mul_f64 v[12:13], |v[16:17]|, s[24:25]
	s_cbranch_execz .LBB2_131
	s_branch .LBB2_132
.LBB2_129:                              ;   in Loop: Header=BB2_102 Depth=2
                                        ; implicit-def: $vgpr12_vgpr13
	s_branch .LBB2_133
.LBB2_130:                              ;   in Loop: Header=BB2_102 Depth=2
                                        ; implicit-def: $vgpr12_vgpr13
.LBB2_131:                              ;   in Loop: Header=BB2_102 Depth=2
	v_and_b32_e32 v13, 0x7fffffff, v15
	v_mov_b32_e32 v12, v14
	v_and_b32_e32 v19, 0x7fffffff, v17
	v_mov_b32_e32 v18, v16
	v_div_scale_f64 v[20:21], s[2:3], v[18:19], v[18:19], v[12:13]
	v_div_scale_f64 v[12:13], vcc, v[12:13], v[18:19], v[12:13]
	v_rcp_f64_e32 v[22:23], v[20:21]
	v_fma_f64 v[25:26], -v[20:21], v[22:23], 1.0
	v_fma_f64 v[22:23], v[22:23], v[25:26], v[22:23]
	v_fma_f64 v[18:19], -v[20:21], v[22:23], 1.0
	v_fma_f64 v[18:19], v[22:23], v[18:19], v[22:23]
	v_mul_f64 v[22:23], v[12:13], v[18:19]
	v_fma_f64 v[12:13], -v[20:21], v[22:23], v[12:13]
	v_div_fmas_f64 v[12:13], v[12:13], v[18:19], v[22:23]
	v_div_fixup_f64 v[12:13], v[12:13], |v[16:17]|, |v[14:15]|
	v_fma_f64 v[12:13], v[12:13], v[12:13], 1.0
	v_cmp_gt_f64_e32 vcc, s[16:17], v[12:13]
	s_and_b64 s[2:3], vcc, exec
	s_cselect_b32 s2, 0x100, 0
	v_ldexp_f64 v[12:13], v[12:13], s2
	s_cselect_b32 s2, 0xffffff80, 0
	v_rsq_f64_e32 v[18:19], v[12:13]
	v_cmp_class_f64_e32 vcc, v[12:13], v24
	v_mul_f64 v[20:21], v[12:13], v[18:19]
	v_mul_f64 v[18:19], v[18:19], 0.5
	v_fma_f64 v[22:23], -v[18:19], v[20:21], 0.5
	v_fma_f64 v[20:21], v[20:21], v[22:23], v[20:21]
	v_fma_f64 v[18:19], v[18:19], v[22:23], v[18:19]
	v_fma_f64 v[22:23], -v[20:21], v[20:21], v[12:13]
	v_fma_f64 v[20:21], v[22:23], v[18:19], v[20:21]
	v_fma_f64 v[22:23], -v[20:21], v[20:21], v[12:13]
	v_fma_f64 v[18:19], v[22:23], v[18:19], v[20:21]
	v_ldexp_f64 v[18:19], v[18:19], s2
	v_cndmask_b32_e32 v13, v19, v13, vcc
	v_cndmask_b32_e32 v12, v18, v12, vcc
	v_mul_f64 v[12:13], |v[16:17]|, v[12:13]
.LBB2_132:                              ;   in Loop: Header=BB2_102 Depth=2
	s_cbranch_execnz .LBB2_134
.LBB2_133:                              ;   in Loop: Header=BB2_102 Depth=2
	v_and_b32_e32 v13, 0x7fffffff, v17
	v_mov_b32_e32 v12, v16
	v_and_b32_e32 v19, 0x7fffffff, v15
	v_mov_b32_e32 v18, v14
	v_div_scale_f64 v[20:21], s[2:3], v[18:19], v[18:19], v[12:13]
	v_div_scale_f64 v[12:13], vcc, v[12:13], v[18:19], v[12:13]
	v_rcp_f64_e32 v[22:23], v[20:21]
	v_fma_f64 v[25:26], -v[20:21], v[22:23], 1.0
	v_fma_f64 v[22:23], v[22:23], v[25:26], v[22:23]
	v_fma_f64 v[18:19], -v[20:21], v[22:23], 1.0
	v_fma_f64 v[18:19], v[22:23], v[18:19], v[22:23]
	v_mul_f64 v[22:23], v[12:13], v[18:19]
	v_fma_f64 v[12:13], -v[20:21], v[22:23], v[12:13]
	v_div_fmas_f64 v[12:13], v[12:13], v[18:19], v[22:23]
	v_div_fixup_f64 v[12:13], v[12:13], |v[14:15]|, |v[16:17]|
	v_fma_f64 v[12:13], v[12:13], v[12:13], 1.0
	v_cmp_gt_f64_e32 vcc, s[16:17], v[12:13]
	s_and_b64 s[2:3], vcc, exec
	s_cselect_b32 s2, 0x100, 0
	v_ldexp_f64 v[12:13], v[12:13], s2
	s_cselect_b32 s2, 0xffffff80, 0
	v_rsq_f64_e32 v[16:17], v[12:13]
	v_cmp_class_f64_e32 vcc, v[12:13], v24
	v_mul_f64 v[18:19], v[12:13], v[16:17]
	v_mul_f64 v[16:17], v[16:17], 0.5
	v_fma_f64 v[20:21], -v[16:17], v[18:19], 0.5
	v_fma_f64 v[18:19], v[18:19], v[20:21], v[18:19]
	v_fma_f64 v[16:17], v[16:17], v[20:21], v[16:17]
	v_fma_f64 v[20:21], -v[18:19], v[18:19], v[12:13]
	v_fma_f64 v[18:19], v[20:21], v[16:17], v[18:19]
	v_fma_f64 v[20:21], -v[18:19], v[18:19], v[12:13]
	v_fma_f64 v[16:17], v[20:21], v[16:17], v[18:19]
	v_ldexp_f64 v[16:17], v[16:17], s2
	v_cndmask_b32_e32 v13, v17, v13, vcc
	v_cndmask_b32_e32 v12, v16, v12, vcc
	v_mul_f64 v[12:13], |v[14:15]|, v[12:13]
.LBB2_134:                              ;   in Loop: Header=BB2_102 Depth=2
	v_add_f64 v[16:17], v[6:7], v[10:11]
	v_cmp_gt_f64_e64 vcc, |v[6:7]|, |v[10:11]|
	v_cmp_ngt_f64_e64 s[2:3], 0, v[16:17]
	v_cndmask_b32_e32 v15, v7, v11, vcc
	v_cndmask_b32_e32 v14, v6, v10, vcc
	v_cndmask_b32_e32 v7, v11, v7, vcc
	v_cndmask_b32_e32 v6, v10, v6, vcc
	s_and_b64 vcc, exec, s[2:3]
	s_cbranch_vccz .LBB2_137
; %bb.135:                              ;   in Loop: Header=BB2_102 Depth=2
	v_cmp_nlt_f64_e32 vcc, 0, v[16:17]
	s_cbranch_vccz .LBB2_138
; %bb.136:                              ;   in Loop: Header=BB2_102 Depth=2
	v_mul_f64 v[10:11], v[12:13], 0.5
	v_mul_f64 v[18:19], v[12:13], -0.5
	s_cbranch_execz .LBB2_139
	s_branch .LBB2_140
.LBB2_137:                              ;   in Loop: Header=BB2_102 Depth=2
                                        ; implicit-def: $vgpr18_vgpr19
                                        ; implicit-def: $vgpr10_vgpr11
	s_branch .LBB2_141
.LBB2_138:                              ;   in Loop: Header=BB2_102 Depth=2
                                        ; implicit-def: $vgpr18_vgpr19
                                        ; implicit-def: $vgpr10_vgpr11
.LBB2_139:                              ;   in Loop: Header=BB2_102 Depth=2
	v_add_f64 v[10:11], v[16:17], v[12:13]
	v_mul_f64 v[10:11], v[10:11], 0.5
	v_div_scale_f64 v[18:19], s[2:3], v[10:11], v[10:11], v[6:7]
	v_rcp_f64_e32 v[20:21], v[18:19]
	v_fma_f64 v[22:23], -v[18:19], v[20:21], 1.0
	v_fma_f64 v[20:21], v[20:21], v[22:23], v[20:21]
	v_fma_f64 v[22:23], -v[18:19], v[20:21], 1.0
	v_fma_f64 v[20:21], v[20:21], v[22:23], v[20:21]
	v_div_scale_f64 v[22:23], vcc, v[6:7], v[10:11], v[6:7]
	v_mul_f64 v[25:26], v[22:23], v[20:21]
	v_fma_f64 v[18:19], -v[18:19], v[25:26], v[22:23]
	s_nop 1
	v_div_fmas_f64 v[18:19], v[18:19], v[20:21], v[25:26]
	v_div_scale_f64 v[20:21], s[2:3], v[10:11], v[10:11], v[8:9]
	v_div_fixup_f64 v[18:19], v[18:19], v[10:11], v[6:7]
	v_rcp_f64_e32 v[22:23], v[20:21]
	v_fma_f64 v[25:26], -v[20:21], v[22:23], 1.0
	v_fma_f64 v[22:23], v[22:23], v[25:26], v[22:23]
	v_fma_f64 v[25:26], -v[20:21], v[22:23], 1.0
	v_fma_f64 v[22:23], v[22:23], v[25:26], v[22:23]
	v_div_scale_f64 v[25:26], vcc, v[8:9], v[10:11], v[8:9]
	v_mul_f64 v[27:28], v[25:26], v[22:23]
	v_fma_f64 v[20:21], -v[20:21], v[27:28], v[25:26]
	s_nop 1
	v_div_fmas_f64 v[20:21], v[20:21], v[22:23], v[27:28]
	v_div_fixup_f64 v[20:21], v[20:21], v[10:11], v[8:9]
	v_mul_f64 v[20:21], v[8:9], v[20:21]
	v_fma_f64 v[18:19], v[14:15], v[18:19], -v[20:21]
.LBB2_140:                              ;   in Loop: Header=BB2_102 Depth=2
	s_cbranch_execnz .LBB2_142
.LBB2_141:                              ;   in Loop: Header=BB2_102 Depth=2
	v_add_f64 v[10:11], v[16:17], -v[12:13]
	v_mul_f64 v[10:11], v[10:11], 0.5
	v_div_scale_f64 v[12:13], s[2:3], v[10:11], v[10:11], v[6:7]
	v_div_scale_f64 v[16:17], s[2:3], v[10:11], v[10:11], v[8:9]
	;; [unrolled: 1-line block ×3, first 2 shown]
	v_rcp_f64_e32 v[18:19], v[12:13]
	v_rcp_f64_e32 v[20:21], v[16:17]
	v_fma_f64 v[22:23], -v[12:13], v[18:19], 1.0
	v_fma_f64 v[25:26], -v[16:17], v[20:21], 1.0
	v_fma_f64 v[18:19], v[18:19], v[22:23], v[18:19]
	v_div_scale_f64 v[22:23], vcc, v[6:7], v[10:11], v[6:7]
	v_fma_f64 v[20:21], v[20:21], v[25:26], v[20:21]
	v_fma_f64 v[25:26], -v[12:13], v[18:19], 1.0
	v_fma_f64 v[29:30], -v[16:17], v[20:21], 1.0
	v_fma_f64 v[18:19], v[18:19], v[25:26], v[18:19]
	v_fma_f64 v[20:21], v[20:21], v[29:30], v[20:21]
	v_mul_f64 v[25:26], v[22:23], v[18:19]
	v_mul_f64 v[29:30], v[27:28], v[20:21]
	v_fma_f64 v[12:13], -v[12:13], v[25:26], v[22:23]
	v_fma_f64 v[16:17], -v[16:17], v[29:30], v[27:28]
	v_div_fmas_f64 v[12:13], v[12:13], v[18:19], v[25:26]
	s_mov_b64 vcc, s[2:3]
	v_div_fmas_f64 v[16:17], v[16:17], v[20:21], v[29:30]
	v_div_fixup_f64 v[6:7], v[12:13], v[10:11], v[6:7]
	v_div_fixup_f64 v[16:17], v[16:17], v[10:11], v[8:9]
	v_mul_f64 v[8:9], v[8:9], v[16:17]
	v_fma_f64 v[18:19], v[14:15], v[6:7], -v[8:9]
.LBB2_142:                              ;   in Loop: Header=BB2_102 Depth=2
	v_mov_b32_e32 v3, v2
	global_store_dwordx2 v2, v[10:11], s[38:39]
	global_store_dwordx2 v2, v[18:19], s[42:43]
	global_store_dwordx2 v2, v[2:3], s[40:41]
	s_add_i32 s36, s36, -2
	s_cbranch_execz .LBB2_101
	s_branch .LBB2_147
.LBB2_143:                              ;   in Loop: Header=BB2_102 Depth=2
	v_mov_b32_e32 v16, v18
	v_mov_b32_e32 v17, v19
.LBB2_144:                              ;   in Loop: Header=BB2_102 Depth=2
	v_mov_b32_e32 v12, v14
	v_mov_b32_e32 v13, v15
.LBB2_145:                              ;   in Loop: Header=BB2_102 Depth=2
	v_mul_f64 v[10:11], v[12:13], v[10:11]
	v_add_f64 v[8:9], v[8:9], v[16:17]
	s_add_i32 s3, s73, 1
	s_mov_b64 s[44:45], -1
	global_store_dwordx2 v2, v[10:11], s[42:43] offset:-8
	global_store_dwordx2 v2, v[8:9], s[38:39]
	s_and_b64 vcc, exec, s[40:41]
	s_cbranch_vccnz .LBB2_126
.LBB2_146:                              ;   in Loop: Header=BB2_102 Depth=2
	s_mov_b32 s73, s3
	s_and_b64 vcc, exec, s[44:45]
	s_cbranch_vccz .LBB2_101
.LBB2_147:                              ;   in Loop: Header=BB2_102 Depth=2
	s_cmp_lt_i32 s36, s29
	s_cselect_b64 s[2:3], -1, 0
	s_cmp_ge_i32 s73, s60
	s_cselect_b64 s[8:9], -1, 0
	s_or_b64 s[8:9], s[2:3], s[8:9]
	s_branch .LBB2_101
.LBB2_148:
	s_cmp_lt_i32 s33, 2
	s_cbranch_scc1 .LBB2_159
; %bb.149:
	s_load_dwordx2 s[0:1], s[4:5], 0x28
	s_lshl_b64 s[4:5], s[6:7], 2
	s_mov_b32 s2, 1
	v_mov_b32_e32 v0, 0
	s_waitcnt lgkmcnt(0)
	s_add_u32 s0, s0, s4
	s_addc_u32 s1, s1, s5
	s_branch .LBB2_151
.LBB2_150:                              ;   in Loop: Header=BB2_151 Depth=1
	s_add_i32 s2, s2, 1
	s_add_u32 s14, s14, 8
	s_addc_u32 s15, s15, 0
	s_cmp_lg_u32 s33, s2
	s_cbranch_scc0 .LBB2_153
.LBB2_151:                              ; =>This Inner Loop Header: Depth=1
	global_load_dwordx2 v[1:2], v0, s[14:15]
	s_waitcnt vmcnt(0)
	v_cmp_eq_f64_e32 vcc, 0, v[1:2]
	s_cbranch_vccnz .LBB2_150
; %bb.152:                              ;   in Loop: Header=BB2_151 Depth=1
	global_load_dword v1, v0, s[0:1]
	s_waitcnt vmcnt(0)
	v_add_u32_e32 v1, 1, v1
	global_store_dword v0, v1, s[0:1]
	s_branch .LBB2_150
.LBB2_153:
	s_add_u32 s0, s12, s10
	s_addc_u32 s1, s13, s11
	s_add_u32 s0, s0, 8
	s_addc_u32 s1, s1, 0
	s_mov_b32 s2, 1
	v_mov_b32_e32 v4, 0
	s_branch .LBB2_155
.LBB2_154:                              ;   in Loop: Header=BB2_155 Depth=1
	s_add_i32 s2, s2, 1
	s_add_u32 s0, s0, 8
	s_addc_u32 s1, s1, 0
	s_cmp_lg_u32 s2, s33
	s_cbranch_scc0 .LBB2_159
.LBB2_155:                              ; =>This Loop Header: Depth=1
                                        ;     Child Loop BB2_156 Depth 2
	s_ashr_i32 s3, s2, 31
	s_add_i32 s7, s2, -1
	s_lshl_b64 s[4:5], s[2:3], 3
	s_add_u32 s4, s58, s4
	s_addc_u32 s5, s59, s5
	global_load_dwordx2 v[0:1], v4, s[4:5] offset:-8
	s_mov_b64 s[8:9], s[0:1]
	s_mov_b32 s3, s2
	s_mov_b32 s6, s7
	s_waitcnt vmcnt(0)
	v_mov_b32_e32 v3, v1
	v_mov_b32_e32 v2, v0
.LBB2_156:                              ;   Parent Loop BB2_155 Depth=1
                                        ; =>  This Inner Loop Header: Depth=2
	global_load_dwordx2 v[5:6], v4, s[8:9]
	s_waitcnt vmcnt(0)
	v_cmp_lt_f64_e32 vcc, v[5:6], v[2:3]
	s_and_b64 s[10:11], vcc, exec
	s_cselect_b32 s6, s3, s6
	s_add_i32 s3, s3, 1
	s_add_u32 s8, s8, 8
	s_addc_u32 s9, s9, 0
	v_cndmask_b32_e32 v3, v3, v6, vcc
	s_cmp_eq_u32 s33, s3
	v_cndmask_b32_e32 v2, v2, v5, vcc
	s_cbranch_scc0 .LBB2_156
; %bb.157:                              ;   in Loop: Header=BB2_155 Depth=1
	s_cmp_lg_u32 s6, s7
	s_cbranch_scc0 .LBB2_154
; %bb.158:                              ;   in Loop: Header=BB2_155 Depth=1
	s_ashr_i32 s7, s6, 31
	s_lshl_b64 s[6:7], s[6:7], 3
	s_add_u32 s6, s58, s6
	s_addc_u32 s7, s59, s7
	global_store_dwordx2 v4, v[0:1], s[6:7]
	global_store_dwordx2 v4, v[2:3], s[4:5] offset:-8
	s_branch .LBB2_154
.LBB2_159:
	s_endpgm
	.section	.rodata,"a",@progbits
	.p2align	6, 0x0
	.amdhsa_kernel _ZN9rocsolver6v33100L12sterf_kernelIdEEviPT_lS3_lPiS4_iS2_S2_S2_
		.amdhsa_group_segment_fixed_size 0
		.amdhsa_private_segment_fixed_size 0
		.amdhsa_kernarg_size 88
		.amdhsa_user_sgpr_count 6
		.amdhsa_user_sgpr_private_segment_buffer 1
		.amdhsa_user_sgpr_dispatch_ptr 0
		.amdhsa_user_sgpr_queue_ptr 0
		.amdhsa_user_sgpr_kernarg_segment_ptr 1
		.amdhsa_user_sgpr_dispatch_id 0
		.amdhsa_user_sgpr_flat_scratch_init 0
		.amdhsa_user_sgpr_private_segment_size 0
		.amdhsa_uses_dynamic_stack 0
		.amdhsa_system_sgpr_private_segment_wavefront_offset 0
		.amdhsa_system_sgpr_workgroup_id_x 1
		.amdhsa_system_sgpr_workgroup_id_y 0
		.amdhsa_system_sgpr_workgroup_id_z 0
		.amdhsa_system_sgpr_workgroup_info 0
		.amdhsa_system_vgpr_workitem_id 0
		.amdhsa_next_free_vgpr 31
		.amdhsa_next_free_sgpr 74
		.amdhsa_reserve_vcc 1
		.amdhsa_reserve_flat_scratch 0
		.amdhsa_float_round_mode_32 0
		.amdhsa_float_round_mode_16_64 0
		.amdhsa_float_denorm_mode_32 3
		.amdhsa_float_denorm_mode_16_64 3
		.amdhsa_dx10_clamp 1
		.amdhsa_ieee_mode 1
		.amdhsa_fp16_overflow 0
		.amdhsa_exception_fp_ieee_invalid_op 0
		.amdhsa_exception_fp_denorm_src 0
		.amdhsa_exception_fp_ieee_div_zero 0
		.amdhsa_exception_fp_ieee_overflow 0
		.amdhsa_exception_fp_ieee_underflow 0
		.amdhsa_exception_fp_ieee_inexact 0
		.amdhsa_exception_int_div_zero 0
	.end_amdhsa_kernel
	.section	.text._ZN9rocsolver6v33100L12sterf_kernelIdEEviPT_lS3_lPiS4_iS2_S2_S2_,"axG",@progbits,_ZN9rocsolver6v33100L12sterf_kernelIdEEviPT_lS3_lPiS4_iS2_S2_S2_,comdat
.Lfunc_end2:
	.size	_ZN9rocsolver6v33100L12sterf_kernelIdEEviPT_lS3_lPiS4_iS2_S2_S2_, .Lfunc_end2-_ZN9rocsolver6v33100L12sterf_kernelIdEEviPT_lS3_lPiS4_iS2_S2_S2_
                                        ; -- End function
	.set _ZN9rocsolver6v33100L12sterf_kernelIdEEviPT_lS3_lPiS4_iS2_S2_S2_.num_vgpr, 31
	.set _ZN9rocsolver6v33100L12sterf_kernelIdEEviPT_lS3_lPiS4_iS2_S2_S2_.num_agpr, 0
	.set _ZN9rocsolver6v33100L12sterf_kernelIdEEviPT_lS3_lPiS4_iS2_S2_S2_.numbered_sgpr, 74
	.set _ZN9rocsolver6v33100L12sterf_kernelIdEEviPT_lS3_lPiS4_iS2_S2_S2_.num_named_barrier, 0
	.set _ZN9rocsolver6v33100L12sterf_kernelIdEEviPT_lS3_lPiS4_iS2_S2_S2_.private_seg_size, 0
	.set _ZN9rocsolver6v33100L12sterf_kernelIdEEviPT_lS3_lPiS4_iS2_S2_S2_.uses_vcc, 1
	.set _ZN9rocsolver6v33100L12sterf_kernelIdEEviPT_lS3_lPiS4_iS2_S2_S2_.uses_flat_scratch, 0
	.set _ZN9rocsolver6v33100L12sterf_kernelIdEEviPT_lS3_lPiS4_iS2_S2_S2_.has_dyn_sized_stack, 0
	.set _ZN9rocsolver6v33100L12sterf_kernelIdEEviPT_lS3_lPiS4_iS2_S2_S2_.has_recursion, 0
	.set _ZN9rocsolver6v33100L12sterf_kernelIdEEviPT_lS3_lPiS4_iS2_S2_S2_.has_indirect_call, 0
	.section	.AMDGPU.csdata,"",@progbits
; Kernel info:
; codeLenInByte = 8812
; TotalNumSgprs: 78
; NumVgprs: 31
; ScratchSize: 0
; MemoryBound: 0
; FloatMode: 240
; IeeeMode: 1
; LDSByteSize: 0 bytes/workgroup (compile time only)
; SGPRBlocks: 9
; VGPRBlocks: 7
; NumSGPRsForWavesPerEU: 78
; NumVGPRsForWavesPerEU: 31
; Occupancy: 8
; WaveLimiterHint : 0
; COMPUTE_PGM_RSRC2:SCRATCH_EN: 0
; COMPUTE_PGM_RSRC2:USER_SGPR: 6
; COMPUTE_PGM_RSRC2:TRAP_HANDLER: 0
; COMPUTE_PGM_RSRC2:TGID_X_EN: 1
; COMPUTE_PGM_RSRC2:TGID_Y_EN: 0
; COMPUTE_PGM_RSRC2:TGID_Z_EN: 0
; COMPUTE_PGM_RSRC2:TIDIG_COMP_CNT: 0
	.section	.AMDGPU.gpr_maximums,"",@progbits
	.set amdgpu.max_num_vgpr, 0
	.set amdgpu.max_num_agpr, 0
	.set amdgpu.max_num_sgpr, 0
	.section	.AMDGPU.csdata,"",@progbits
	.type	__hip_cuid_fed023488e8dcda4,@object ; @__hip_cuid_fed023488e8dcda4
	.section	.bss,"aw",@nobits
	.globl	__hip_cuid_fed023488e8dcda4
__hip_cuid_fed023488e8dcda4:
	.byte	0                               ; 0x0
	.size	__hip_cuid_fed023488e8dcda4, 1

	.ident	"AMD clang version 22.0.0git (https://github.com/RadeonOpenCompute/llvm-project roc-7.2.4 26084 f58b06dce1f9c15707c5f808fd002e18c2accf7e)"
	.section	".note.GNU-stack","",@progbits
	.addrsig
	.addrsig_sym __hip_cuid_fed023488e8dcda4
	.amdgpu_metadata
---
amdhsa.kernels:
  - .args:
      - .address_space:  global
        .offset:         0
        .size:           8
        .value_kind:     global_buffer
      - .offset:         8
        .size:           4
        .value_kind:     by_value
      - .offset:         12
        .size:           4
        .value_kind:     by_value
      - .offset:         16
        .size:           4
        .value_kind:     by_value
      - .offset:         24
        .size:           4
        .value_kind:     hidden_block_count_x
      - .offset:         28
        .size:           4
        .value_kind:     hidden_block_count_y
      - .offset:         32
        .size:           4
        .value_kind:     hidden_block_count_z
      - .offset:         36
        .size:           2
        .value_kind:     hidden_group_size_x
      - .offset:         38
        .size:           2
        .value_kind:     hidden_group_size_y
      - .offset:         40
        .size:           2
        .value_kind:     hidden_group_size_z
      - .offset:         42
        .size:           2
        .value_kind:     hidden_remainder_x
      - .offset:         44
        .size:           2
        .value_kind:     hidden_remainder_y
      - .offset:         46
        .size:           2
        .value_kind:     hidden_remainder_z
      - .offset:         64
        .size:           8
        .value_kind:     hidden_global_offset_x
      - .offset:         72
        .size:           8
        .value_kind:     hidden_global_offset_y
      - .offset:         80
        .size:           8
        .value_kind:     hidden_global_offset_z
      - .offset:         88
        .size:           2
        .value_kind:     hidden_grid_dims
    .group_segment_fixed_size: 0
    .kernarg_segment_align: 8
    .kernarg_segment_size: 280
    .language:       OpenCL C
    .language_version:
      - 2
      - 0
    .max_flat_workgroup_size: 1024
    .name:           _ZN9rocsolver6v33100L10reset_infoIiiiEEvPT_T0_T1_S4_
    .private_segment_fixed_size: 0
    .sgpr_count:     12
    .sgpr_spill_count: 0
    .symbol:         _ZN9rocsolver6v33100L10reset_infoIiiiEEvPT_T0_T1_S4_.kd
    .uniform_work_group_size: 1
    .uses_dynamic_stack: false
    .vgpr_count:     4
    .vgpr_spill_count: 0
    .wavefront_size: 64
  - .args:
      - .offset:         0
        .size:           4
        .value_kind:     by_value
      - .address_space:  global
        .offset:         8
        .size:           8
        .value_kind:     global_buffer
      - .offset:         16
        .size:           8
        .value_kind:     by_value
      - .address_space:  global
        .offset:         24
        .size:           8
        .value_kind:     global_buffer
      - .offset:         32
        .size:           8
        .value_kind:     by_value
      - .address_space:  global
        .offset:         40
        .size:           8
        .value_kind:     global_buffer
      - .address_space:  global
        .offset:         48
        .size:           8
        .value_kind:     global_buffer
      - .offset:         56
        .size:           4
        .value_kind:     by_value
      - .offset:         60
        .size:           4
        .value_kind:     by_value
      - .offset:         64
        .size:           4
        .value_kind:     by_value
      - .offset:         68
        .size:           4
        .value_kind:     by_value
    .group_segment_fixed_size: 0
    .kernarg_segment_align: 8
    .kernarg_segment_size: 72
    .language:       OpenCL C
    .language_version:
      - 2
      - 0
    .max_flat_workgroup_size: 1024
    .name:           _ZN9rocsolver6v33100L12sterf_kernelIfEEviPT_lS3_lPiS4_iS2_S2_S2_
    .private_segment_fixed_size: 0
    .sgpr_count:     75
    .sgpr_spill_count: 0
    .symbol:         _ZN9rocsolver6v33100L12sterf_kernelIfEEviPT_lS3_lPiS4_iS2_S2_S2_.kd
    .uniform_work_group_size: 1
    .uses_dynamic_stack: false
    .vgpr_count:     26
    .vgpr_spill_count: 0
    .wavefront_size: 64
  - .args:
      - .offset:         0
        .size:           4
        .value_kind:     by_value
      - .address_space:  global
        .offset:         8
        .size:           8
        .value_kind:     global_buffer
      - .offset:         16
        .size:           8
        .value_kind:     by_value
      - .address_space:  global
        .offset:         24
        .size:           8
        .value_kind:     global_buffer
      - .offset:         32
        .size:           8
        .value_kind:     by_value
      - .address_space:  global
        .offset:         40
        .size:           8
        .value_kind:     global_buffer
      - .address_space:  global
        .offset:         48
        .size:           8
        .value_kind:     global_buffer
      - .offset:         56
        .size:           4
        .value_kind:     by_value
      - .offset:         64
        .size:           8
        .value_kind:     by_value
      - .offset:         72
        .size:           8
        .value_kind:     by_value
      - .offset:         80
        .size:           8
        .value_kind:     by_value
    .group_segment_fixed_size: 0
    .kernarg_segment_align: 8
    .kernarg_segment_size: 88
    .language:       OpenCL C
    .language_version:
      - 2
      - 0
    .max_flat_workgroup_size: 1024
    .name:           _ZN9rocsolver6v33100L12sterf_kernelIdEEviPT_lS3_lPiS4_iS2_S2_S2_
    .private_segment_fixed_size: 0
    .sgpr_count:     78
    .sgpr_spill_count: 0
    .symbol:         _ZN9rocsolver6v33100L12sterf_kernelIdEEviPT_lS3_lPiS4_iS2_S2_S2_.kd
    .uniform_work_group_size: 1
    .uses_dynamic_stack: false
    .vgpr_count:     31
    .vgpr_spill_count: 0
    .wavefront_size: 64
amdhsa.target:   amdgcn-amd-amdhsa--gfx906
amdhsa.version:
  - 1
  - 2
...

	.end_amdgpu_metadata
